;; amdgpu-corpus repo=ROCm/rocFFT kind=compiled arch=gfx906 opt=O3
	.text
	.amdgcn_target "amdgcn-amd-amdhsa--gfx906"
	.amdhsa_code_object_version 6
	.protected	bluestein_single_back_len990_dim1_sp_op_CI_CI ; -- Begin function bluestein_single_back_len990_dim1_sp_op_CI_CI
	.globl	bluestein_single_back_len990_dim1_sp_op_CI_CI
	.p2align	8
	.type	bluestein_single_back_len990_dim1_sp_op_CI_CI,@function
bluestein_single_back_len990_dim1_sp_op_CI_CI: ; @bluestein_single_back_len990_dim1_sp_op_CI_CI
; %bb.0:
	s_load_dwordx4 s[8:11], s[4:5], 0x28
	v_mul_u32_u24_e32 v1, 0x254, v0
	v_add_u32_sdwa v82, s6, v1 dst_sel:DWORD dst_unused:UNUSED_PAD src0_sel:DWORD src1_sel:WORD_1
	v_mov_b32_e32 v83, 0
	s_waitcnt lgkmcnt(0)
	v_cmp_gt_u64_e32 vcc, s[8:9], v[82:83]
	s_and_saveexec_b64 s[0:1], vcc
	s_cbranch_execz .LBB0_31
; %bb.1:
	s_load_dwordx4 s[12:15], s[4:5], 0x18
	s_load_dwordx2 s[16:17], s[4:5], 0x0
	s_movk_i32 s6, 0x6e
	v_mul_lo_u16_sdwa v1, v1, s6 dst_sel:DWORD dst_unused:UNUSED_PAD src0_sel:WORD_1 src1_sel:DWORD
	v_sub_u16_e32 v96, v0, v1
	s_waitcnt lgkmcnt(0)
	s_load_dwordx4 s[0:3], s[12:13], 0x0
	v_lshlrev_b32_e32 v95, 3, v96
	global_load_dwordx2 v[89:90], v95, s[16:17] offset:3960
	s_waitcnt lgkmcnt(0)
	v_mad_u64_u32 v[0:1], s[6:7], s2, v82, 0
	v_mad_u64_u32 v[2:3], s[6:7], s0, v96, 0
	s_mul_i32 s6, s1, 0x1ef
	s_mul_hi_u32 s7, s0, 0x1ef
	v_mad_u64_u32 v[4:5], s[2:3], s3, v82, v[1:2]
	s_add_i32 s7, s7, s6
	s_mul_i32 s6, s0, 0x1ef
	v_mad_u64_u32 v[5:6], s[2:3], s1, v96, v[3:4]
	v_mov_b32_e32 v1, v4
	v_lshlrev_b64 v[0:1], 3, v[0:1]
	v_mov_b32_e32 v6, s11
	v_mov_b32_e32 v3, v5
	v_add_co_u32_e32 v4, vcc, s10, v0
	v_addc_co_u32_e32 v5, vcc, v6, v1, vcc
	v_lshlrev_b64 v[0:1], 3, v[2:3]
	v_add_co_u32_e64 v74, s[2:3], s16, v95
	v_add_co_u32_e32 v0, vcc, v4, v0
	v_mov_b32_e32 v4, s17
	s_mul_hi_u32 s8, s0, 0xfffffe7f
	v_addc_co_u32_e32 v1, vcc, v5, v1, vcc
	v_addc_co_u32_e64 v75, vcc, 0, v4, s[2:3]
	s_lshl_b64 s[6:7], s[6:7], 3
	s_mulk_i32 s1, 0xfe7f
	s_sub_i32 s8, s8, s0
	global_load_dwordx2 v[2:3], v[0:1], off
	v_mov_b32_e32 v18, s7
	v_add_co_u32_e32 v0, vcc, s6, v0
	s_add_i32 s1, s8, s1
	s_mulk_i32 s0, 0xfe7f
	v_addc_co_u32_e32 v1, vcc, v1, v18, vcc
	s_lshl_b64 s[18:19], s[0:1], 3
	v_mov_b32_e32 v16, s19
	v_add_co_u32_e32 v4, vcc, s18, v0
	v_addc_co_u32_e32 v5, vcc, v1, v16, vcc
	v_add_co_u32_e32 v6, vcc, s6, v4
	v_addc_co_u32_e32 v7, vcc, v5, v18, vcc
	s_movk_i32 s0, 0x1000
	global_load_dwordx2 v[91:92], v95, s[16:17]
	global_load_dwordx2 v[87:88], v95, s[16:17] offset:880
	global_load_dwordx2 v[8:9], v[0:1], off
	global_load_dwordx2 v[10:11], v[4:5], off
	;; [unrolled: 1-line block ×3, first 2 shown]
	v_add_co_u32_e32 v4, vcc, s0, v74
	v_addc_co_u32_e32 v5, vcc, 0, v75, vcc
	v_add_co_u32_e32 v0, vcc, s18, v6
	v_addc_co_u32_e32 v1, vcc, v7, v16, vcc
	global_load_dwordx2 v[85:86], v[4:5], off offset:744
	global_load_dwordx2 v[6:7], v[0:1], off
	global_load_dwordx2 v[83:84], v95, s[16:17] offset:1760
	v_add_co_u32_e32 v0, vcc, s6, v0
	v_addc_co_u32_e32 v1, vcc, v1, v18, vcc
	global_load_dwordx2 v[14:15], v[0:1], off
	global_load_dwordx2 v[80:81], v[4:5], off offset:1624
	v_add_co_u32_e32 v0, vcc, s18, v0
	v_addc_co_u32_e32 v1, vcc, v1, v16, vcc
	global_load_dwordx2 v[16:17], v[0:1], off
	global_load_dwordx2 v[78:79], v95, s[16:17] offset:2640
	v_add_co_u32_e32 v0, vcc, s6, v0
	v_addc_co_u32_e32 v1, vcc, v1, v18, vcc
	global_load_dwordx2 v[76:77], v[4:5], off offset:2504
	global_load_dwordx2 v[18:19], v[0:1], off
	s_load_dwordx2 s[12:13], s[4:5], 0x38
	s_load_dwordx4 s[8:11], s[14:15], 0x0
	v_cmp_gt_u16_e64 s[0:1], 55, v96
	s_waitcnt vmcnt(13)
	v_mul_f32_e32 v4, v3, v92
	v_mul_f32_e32 v5, v2, v92
	v_fmac_f32_e32 v4, v2, v91
	v_fma_f32 v5, v3, v91, -v5
	s_waitcnt vmcnt(11)
	v_mul_f32_e32 v2, v9, v90
	v_mul_f32_e32 v3, v8, v90
	v_fmac_f32_e32 v2, v8, v89
	v_fma_f32 v3, v9, v89, -v3
	ds_write_b64 v95, v[2:3] offset:3960
	s_waitcnt vmcnt(10)
	v_mul_f32_e32 v2, v11, v88
	v_mul_f32_e32 v3, v10, v88
	v_fmac_f32_e32 v2, v10, v87
	v_fma_f32 v3, v11, v87, -v3
	ds_write2_b64 v95, v[4:5], v[2:3] offset1:110
	s_waitcnt vmcnt(6)
	v_mul_f32_e32 v4, v7, v84
	v_mul_f32_e32 v5, v6, v84
	;; [unrolled: 1-line block ×4, first 2 shown]
	v_fmac_f32_e32 v4, v6, v83
	v_fma_f32 v5, v7, v83, -v5
	s_waitcnt vmcnt(4)
	v_mul_f32_e32 v6, v15, v81
	v_mul_f32_e32 v7, v14, v81
	v_fmac_f32_e32 v2, v12, v85
	v_fma_f32 v3, v13, v85, -v3
	v_fmac_f32_e32 v6, v14, v80
	v_fma_f32 v7, v15, v80, -v7
	v_add_u32_e32 v8, 0x1000, v95
	ds_write2_b64 v8, v[2:3], v[6:7] offset0:93 offset1:203
	s_waitcnt vmcnt(2)
	v_mul_f32_e32 v6, v17, v79
	v_mul_f32_e32 v2, v16, v79
	v_fmac_f32_e32 v6, v16, v78
	v_fma_f32 v7, v17, v78, -v2
	v_add_u32_e32 v2, 0x400, v95
	ds_write2_b64 v2, v[4:5], v[6:7] offset0:92 offset1:202
	s_waitcnt vmcnt(0)
	v_mul_f32_e32 v3, v19, v77
	v_mul_f32_e32 v4, v18, v77
	v_fmac_f32_e32 v3, v18, v76
	v_fma_f32 v4, v19, v76, -v4
	ds_write_b64 v95, v[3:4] offset:6600
	s_and_saveexec_b64 s[14:15], s[0:1]
	s_cbranch_execz .LBB0_3
; %bb.2:
	v_mov_b32_e32 v3, s19
	v_add_co_u32_e32 v0, vcc, s18, v0
	v_addc_co_u32_e32 v1, vcc, v1, v3, vcc
	global_load_dwordx2 v[3:4], v[0:1], off
	global_load_dwordx2 v[5:6], v[74:75], off offset:3520
	v_mov_b32_e32 v7, s7
	v_add_co_u32_e32 v0, vcc, s6, v0
	v_addc_co_u32_e32 v1, vcc, v1, v7, vcc
	v_add_co_u32_e32 v7, vcc, 0x1000, v74
	v_addc_co_u32_e32 v8, vcc, 0, v75, vcc
	global_load_dwordx2 v[9:10], v[7:8], off offset:3384
	global_load_dwordx2 v[11:12], v[0:1], off
	s_waitcnt vmcnt(2)
	v_mul_f32_e32 v0, v4, v6
	v_mul_f32_e32 v1, v3, v6
	v_fmac_f32_e32 v0, v3, v5
	v_fma_f32 v1, v4, v5, -v1
	ds_write_b64 v95, v[0:1] offset:3520
	s_waitcnt vmcnt(0)
	v_mul_f32_e32 v3, v12, v10
	v_mul_f32_e32 v4, v11, v10
	v_fmac_f32_e32 v3, v11, v9
	v_fma_f32 v4, v12, v9, -v4
	ds_write_b64 v95, v[3:4] offset:7480
.LBB0_3:
	s_or_b64 exec, exec, s[14:15]
	v_add_u32_e32 v0, 0xc00, v95
	v_add_u32_e32 v8, 0x1400, v95
	s_load_dwordx2 s[14:15], s[4:5], 0x8
	s_waitcnt lgkmcnt(0)
	s_barrier
	ds_read2_b64 v[4:7], v95 offset1:110
	ds_read2_b64 v[12:15], v0 offset0:111 offset1:221
	ds_read2_b64 v[0:3], v2 offset0:92 offset1:202
	;; [unrolled: 1-line block ×3, first 2 shown]
                                        ; implicit-def: $vgpr18
                                        ; implicit-def: $vgpr16
	s_and_saveexec_b64 s[4:5], s[0:1]
	s_cbranch_execz .LBB0_5
; %bb.4:
	ds_read_b64 v[16:17], v95 offset:3520
	ds_read_b64 v[18:19], v95 offset:7480
.LBB0_5:
	s_or_b64 exec, exec, s[4:5]
	s_movk_i32 s4, 0xdc
	s_waitcnt lgkmcnt(2)
	v_sub_f32_e32 v14, v6, v14
	v_add_co_u32_e32 v20, vcc, s4, v96
	s_movk_i32 s4, 0x1b8
	v_sub_f32_e32 v32, v4, v12
	v_sub_f32_e32 v15, v7, v15
	v_fma_f32 v12, v6, 2.0, -v14
	s_waitcnt lgkmcnt(0)
	v_sub_f32_e32 v6, v0, v8
	v_add_co_u32_e32 v24, vcc, 0x6e, v96
	v_add_co_u32_e32 v21, vcc, s4, v96
	v_sub_f32_e32 v33, v5, v13
	v_fma_f32 v30, v4, 2.0, -v32
	v_fma_f32 v13, v7, 2.0, -v15
	v_sub_f32_e32 v7, v1, v9
	v_fma_f32 v4, v0, 2.0, -v6
	v_lshlrev_b16_e32 v0, 1, v96
	v_lshlrev_b32_e32 v101, 4, v96
	v_fma_f32 v31, v5, 2.0, -v33
	v_fma_f32 v5, v1, 2.0, -v7
	v_sub_f32_e32 v10, v2, v10
	v_sub_f32_e32 v11, v3, v11
	;; [unrolled: 1-line block ×4, first 2 shown]
	v_lshlrev_b32_e32 v98, 3, v0
	v_lshlrev_b32_e32 v99, 4, v24
	;; [unrolled: 1-line block ×4, first 2 shown]
	v_fma_f32 v8, v2, 2.0, -v10
	v_fma_f32 v9, v3, 2.0, -v11
	s_barrier
	ds_write_b128 v98, v[30:33]
	ds_write_b128 v99, v[12:15]
	;; [unrolled: 1-line block ×3, first 2 shown]
	ds_write_b128 v101, v[8:11] offset:5280
	s_and_saveexec_b64 s[4:5], s[0:1]
	s_cbranch_execz .LBB0_7
; %bb.6:
	v_fma_f32 v27, v17, 2.0, -v29
	v_fma_f32 v26, v16, 2.0, -v28
	ds_write_b128 v97, v[26:29]
.LBB0_7:
	s_or_b64 exec, exec, s[4:5]
	v_and_b32_e32 v19, 1, v96
	v_lshlrev_b32_e32 v0, 4, v19
	s_waitcnt lgkmcnt(0)
	s_barrier
	global_load_dwordx4 v[0:3], v0, s[14:15]
	ds_read2_b64 v[4:7], v95 offset1:110
	v_add_u32_e32 v23, 0x400, v95
	v_add_u32_e32 v27, 0x1400, v95
	;; [unrolled: 1-line block ×3, first 2 shown]
	ds_read_b64 v[17:18], v95 offset:7040
	ds_read2_b64 v[8:11], v23 offset0:92 offset1:202
	ds_read2_b64 v[12:15], v27 offset0:20 offset1:130
	;; [unrolled: 1-line block ×3, first 2 shown]
	s_waitcnt vmcnt(0) lgkmcnt(0)
	s_barrier
	s_movk_i32 s4, 0xab
	v_mul_f32_e32 v21, v11, v1
	v_mul_f32_e32 v22, v10, v1
	v_mul_f32_e32 v25, v13, v3
	v_mul_f32_e32 v41, v17, v3
	v_fma_f32 v10, v10, v0, -v21
	v_fmac_f32_e32 v22, v11, v0
	v_fma_f32 v11, v12, v2, -v25
	v_mul_f32_e32 v26, v12, v3
	v_mul_f32_e32 v37, v14, v3
	;; [unrolled: 1-line block ×3, first 2 shown]
	v_fmac_f32_e32 v41, v18, v2
	v_add_f32_e32 v18, v10, v11
	v_mul_f32_e32 v34, v31, v1
	v_mul_f32_e32 v35, v30, v1
	;; [unrolled: 1-line block ×3, first 2 shown]
	v_fmac_f32_e32 v26, v13, v2
	v_fmac_f32_e32 v37, v15, v2
	v_fma_f32 v15, v17, v2, -v40
	v_add_f32_e32 v17, v4, v10
	v_fma_f32 v4, -0.5, v18, v4
	v_fma_f32 v12, v30, v0, -v34
	v_fmac_f32_e32 v35, v31, v0
	v_sub_f32_e32 v30, v22, v26
	v_sub_f32_e32 v31, v10, v11
	v_add_f32_e32 v10, v17, v11
	v_mov_b32_e32 v17, v4
	v_add_f32_e32 v21, v5, v22
	v_add_f32_e32 v22, v22, v26
	v_fmac_f32_e32 v4, 0xbf5db3d7, v30
	v_fmac_f32_e32 v17, 0x3f5db3d7, v30
	v_lshrrev_b32_e32 v30, 1, v96
	v_fma_f32 v5, -0.5, v22, v5
	v_mul_u32_u24_e32 v30, 6, v30
	v_mov_b32_e32 v18, v5
	v_or_b32_e32 v30, v30, v19
	v_add_f32_e32 v11, v21, v26
	v_fmac_f32_e32 v18, 0xbf5db3d7, v31
	v_lshlrev_b32_e32 v104, 3, v30
	v_fmac_f32_e32 v5, 0x3f5db3d7, v31
	ds_write2_b64 v104, v[10:11], v[17:18] offset1:2
	ds_write_b64 v104, v[4:5] offset:32
	v_lshrrev_b32_e32 v4, 1, v24
	v_mul_u32_u24_e32 v4, 6, v4
	v_or_b32_e32 v4, v4, v19
	v_lshlrev_b32_e32 v105, 3, v4
	v_lshrrev_b32_e32 v4, 1, v20
	v_mul_f32_e32 v38, v33, v1
	v_mul_u32_u24_e32 v4, 6, v4
	v_fma_f32 v13, v14, v2, -v36
	v_fma_f32 v14, v32, v0, -v38
	v_or_b32_e32 v4, v4, v19
	v_add_f32_e32 v38, v8, v14
	v_lshlrev_b32_e32 v106, 3, v4
	v_mul_lo_u16_sdwa v4, v96, s4 dst_sel:DWORD dst_unused:UNUSED_PAD src0_sel:BYTE_0 src1_sel:DWORD
	v_mul_f32_e32 v39, v32, v1
	v_add_f32_e32 v40, v14, v15
	v_sub_f32_e32 v44, v14, v15
	v_add_f32_e32 v14, v38, v15
	v_lshrrev_b16_e32 v38, 10, v4
	v_fmac_f32_e32 v39, v33, v0
	v_mul_lo_u16_e32 v4, 6, v38
	v_sub_f32_e32 v42, v39, v41
	v_add_f32_e32 v43, v9, v39
	v_add_f32_e32 v39, v39, v41
	v_sub_u16_e32 v4, v96, v4
	v_add_f32_e32 v32, v12, v13
	v_sub_f32_e32 v33, v35, v37
	v_add_f32_e32 v34, v7, v35
	v_add_f32_e32 v35, v35, v37
	v_fmac_f32_e32 v9, -0.5, v39
	v_and_b32_e32 v39, 0xff, v4
	v_mul_lo_u16_sdwa v4, v24, s4 dst_sel:DWORD dst_unused:UNUSED_PAD src0_sel:BYTE_0 src1_sel:DWORD
	v_add_f32_e32 v25, v6, v12
	v_fma_f32 v6, -0.5, v32, v6
	v_fmac_f32_e32 v7, -0.5, v35
	v_fma_f32 v8, -0.5, v40, v8
	v_lshrrev_b16_e32 v40, 10, v4
	v_sub_f32_e32 v36, v12, v13
	v_mov_b32_e32 v21, v6
	v_mov_b32_e32 v22, v7
	v_mul_lo_u16_e32 v4, 6, v40
	v_add_f32_e32 v12, v25, v13
	v_add_f32_e32 v13, v34, v37
	v_mov_b32_e32 v25, v8
	v_mov_b32_e32 v26, v9
	v_fmac_f32_e32 v21, 0x3f5db3d7, v33
	v_fmac_f32_e32 v22, 0xbf5db3d7, v36
	v_sub_u16_e32 v4, v24, v4
	v_add_f32_e32 v15, v43, v41
	v_fmac_f32_e32 v6, 0xbf5db3d7, v33
	v_fmac_f32_e32 v7, 0x3f5db3d7, v36
	;; [unrolled: 1-line block ×6, first 2 shown]
	ds_write2_b64 v105, v[12:13], v[21:22] offset1:2
	ds_write_b64 v105, v[6:7] offset:32
	v_lshlrev_b32_e32 v12, 4, v39
	v_and_b32_e32 v41, 0xff, v4
	s_mov_b32 s4, 0xaaab
	ds_write2_b64 v106, v[14:15], v[25:26] offset1:2
	ds_write_b64 v106, v[8:9] offset:32
	s_waitcnt lgkmcnt(0)
	s_barrier
	v_lshlrev_b32_e32 v13, 4, v41
	global_load_dwordx4 v[8:11], v12, s[14:15] offset:32
	global_load_dwordx4 v[4:7], v13, s[14:15] offset:32
	v_mul_u32_u24_sdwa v12, v20, s4 dst_sel:DWORD dst_unused:UNUSED_PAD src0_sel:WORD_0 src1_sel:DWORD
	v_lshrrev_b32_e32 v46, 18, v12
	v_mul_lo_u16_e32 v12, 6, v46
	v_sub_u16_e32 v47, v20, v12
	v_lshlrev_b16_e32 v12, 4, v47
	v_mov_b32_e32 v13, s15
	v_add_co_u32_e32 v12, vcc, s14, v12
	v_addc_co_u32_e32 v13, vcc, 0, v13, vcc
	global_load_dwordx4 v[12:15], v[12:13], off offset:32
	ds_read2_b64 v[30:33], v23 offset0:92 offset1:202
	ds_read2_b64 v[54:57], v95 offset1:110
	ds_read2_b64 v[17:20], v27 offset0:20 offset1:130
	ds_read2_b64 v[34:37], v16 offset0:56 offset1:166
	ds_read_b64 v[21:22], v95 offset:7040
	s_waitcnt vmcnt(0) lgkmcnt(0)
	s_barrier
	s_movk_i32 s4, 0x58
	v_cmp_gt_u16_e64 s[4:5], s4, v96
	v_mul_f32_e32 v23, v33, v9
	v_mul_f32_e32 v26, v18, v11
	;; [unrolled: 1-line block ×3, first 2 shown]
	v_fma_f32 v23, v32, v8, -v23
	v_fma_f32 v26, v17, v10, -v26
	v_mul_f32_e32 v25, v32, v9
	v_mul_f32_e32 v42, v35, v5
	;; [unrolled: 1-line block ×3, first 2 shown]
	v_fmac_f32_e32 v27, v18, v10
	v_add_f32_e32 v18, v23, v26
	v_mul_f32_e32 v43, v34, v5
	v_mul_f32_e32 v45, v19, v7
	;; [unrolled: 1-line block ×4, first 2 shown]
	v_fmac_f32_e32 v25, v33, v8
	v_fma_f32 v33, v34, v4, -v42
	v_fma_f32 v34, v19, v6, -v44
	v_fma_f32 v19, -0.5, v18, v54
	v_mul_f32_e32 v49, v36, v13
	v_mul_f32_e32 v51, v21, v15
	v_fmac_f32_e32 v43, v35, v4
	v_fmac_f32_e32 v45, v20, v6
	v_fma_f32 v35, v36, v12, -v48
	v_fma_f32 v36, v21, v14, -v50
	v_sub_f32_e32 v20, v25, v27
	v_mov_b32_e32 v21, v19
	v_fmac_f32_e32 v19, 0xbf5db3d7, v20
	v_fmac_f32_e32 v21, 0x3f5db3d7, v20
	v_add_f32_e32 v20, v25, v27
	v_fma_f32 v20, -0.5, v20, v55
	v_fmac_f32_e32 v51, v22, v14
	v_add_f32_e32 v17, v54, v23
	v_sub_f32_e32 v23, v23, v26
	v_mov_b32_e32 v22, v20
	v_fmac_f32_e32 v22, 0xbf5db3d7, v23
	v_fmac_f32_e32 v20, 0x3f5db3d7, v23
	v_add_f32_e32 v23, v56, v33
	v_add_f32_e32 v18, v55, v25
	;; [unrolled: 1-line block ×4, first 2 shown]
	v_fma_f32 v56, -0.5, v23, v56
	v_sub_f32_e32 v23, v43, v45
	v_mov_b32_e32 v32, v56
	v_fmac_f32_e32 v32, 0x3f5db3d7, v23
	v_fmac_f32_e32 v56, 0xbf5db3d7, v23
	v_add_f32_e32 v23, v57, v43
	v_add_f32_e32 v17, v17, v26
	;; [unrolled: 1-line block ×4, first 2 shown]
	v_fmac_f32_e32 v57, -0.5, v23
	v_sub_f32_e32 v23, v33, v34
	v_mov_b32_e32 v33, v57
	v_fmac_f32_e32 v33, 0xbf5db3d7, v23
	v_fmac_f32_e32 v57, 0x3f5db3d7, v23
	v_add_f32_e32 v23, v30, v35
	v_add_f32_e32 v42, v23, v36
	;; [unrolled: 1-line block ×3, first 2 shown]
	v_fmac_f32_e32 v49, v37, v12
	v_fma_f32 v30, -0.5, v23, v30
	v_sub_f32_e32 v23, v49, v51
	v_mov_b32_e32 v44, v30
	v_fmac_f32_e32 v44, 0x3f5db3d7, v23
	v_fmac_f32_e32 v30, 0xbf5db3d7, v23
	v_add_f32_e32 v23, v31, v49
	v_add_f32_e32 v43, v23, v51
	;; [unrolled: 1-line block ×3, first 2 shown]
	v_fmac_f32_e32 v31, -0.5, v23
	v_sub_f32_e32 v23, v35, v36
	v_mov_b32_e32 v45, v31
	v_fmac_f32_e32 v45, 0xbf5db3d7, v23
	v_fmac_f32_e32 v31, 0x3f5db3d7, v23
	v_mul_u32_u24_e32 v23, 18, v38
	v_add_f32_e32 v18, v18, v27
	v_add_lshl_u32 v107, v23, v39, 3
	ds_write2_b64 v107, v[17:18], v[21:22] offset1:6
	ds_write_b64 v107, v[19:20] offset:96
	v_mul_u32_u24_e32 v17, 18, v40
	v_add_lshl_u32 v108, v17, v41, 3
	v_mad_legacy_u16 v17, v46, 18, v47
	v_lshlrev_b32_e32 v109, 3, v17
	ds_write2_b64 v108, v[25:26], v[32:33] offset1:6
	ds_write_b64 v108, v[56:57] offset:96
	ds_write2_b64 v109, v[42:43], v[44:45] offset1:6
	ds_write_b64 v109, v[30:31] offset:96
	s_waitcnt lgkmcnt(0)
	s_barrier
	ds_read2_b64 v[36:39], v95 offset1:198
	ds_read2_b64 v[48:51], v16 offset0:12 offset1:210
	ds_read_b64 v[52:53], v95 offset:6336
	s_and_saveexec_b64 s[6:7], s[4:5]
	s_cbranch_execz .LBB0_9
; %bb.8:
	v_add_u32_e32 v16, 0xf00, v95
	ds_read2_b64 v[44:47], v16 offset0:26 offset1:224
	v_add_u32_e32 v16, 0x200, v95
	ds_read2_b64 v[40:43], v16 offset0:46 offset1:244
	ds_read_b64 v[28:29], v95 offset:7216
	s_waitcnt lgkmcnt(2)
	v_mov_b32_e32 v30, v46
	v_mov_b32_e32 v31, v47
	s_waitcnt lgkmcnt(1)
	v_mov_b32_e32 v56, v40
	v_mov_b32_e32 v57, v41
.LBB0_9:
	s_or_b64 exec, exec, s[6:7]
	v_mov_b32_e32 v25, 57
	v_mul_lo_u16_sdwa v16, v96, v25 dst_sel:DWORD dst_unused:UNUSED_PAD src0_sel:BYTE_0 src1_sel:DWORD
	v_mul_lo_u16_sdwa v25, v24, v25 dst_sel:DWORD dst_unused:UNUSED_PAD src0_sel:BYTE_0 src1_sel:DWORD
	v_lshrrev_b16_e32 v40, 10, v16
	v_lshrrev_b16_e32 v102, 10, v25
	v_mul_lo_u16_e32 v16, 18, v40
	v_mul_lo_u16_e32 v25, 18, v102
	v_sub_u16_e32 v16, v96, v16
	v_sub_u16_e32 v24, v24, v25
	v_and_b32_e32 v41, 0xff, v16
	v_and_b32_e32 v103, 0xff, v24
	v_lshlrev_b32_e32 v26, 5, v41
	v_lshlrev_b32_e32 v46, 5, v103
	global_load_dwordx4 v[20:23], v26, s[14:15] offset:128
	global_load_dwordx4 v[16:19], v26, s[14:15] offset:144
	;; [unrolled: 1-line block ×3, first 2 shown]
	s_nop 0
	global_load_dwordx4 v[24:27], v46, s[14:15] offset:144
	s_movk_i32 s16, 0x5a
	s_waitcnt vmcnt(0) lgkmcnt(0)
	s_barrier
	v_mul_f32_e32 v46, v39, v21
	v_mul_f32_e32 v47, v38, v21
	;; [unrolled: 1-line block ×5, first 2 shown]
	v_fma_f32 v38, v38, v20, -v46
	v_mul_f32_e32 v58, v53, v19
	v_mul_f32_e32 v94, v30, v25
	;; [unrolled: 1-line block ×3, first 2 shown]
	v_fmac_f32_e32 v47, v39, v20
	v_fma_f32 v39, v48, v22, -v54
	v_fma_f32 v46, v50, v16, -v55
	v_fmac_f32_e32 v110, v29, v26
	v_add_f32_e32 v29, v36, v38
	v_mul_f32_e32 v64, v48, v23
	v_mul_f32_e32 v65, v50, v17
	;; [unrolled: 1-line block ×4, first 2 shown]
	v_fma_f32 v48, v52, v18, -v58
	v_fmac_f32_e32 v94, v31, v24
	v_add_f32_e32 v31, v39, v46
	v_add_f32_e32 v29, v29, v39
	v_mul_f32_e32 v67, v42, v33
	v_mul_f32_e32 v60, v45, v35
	v_fmac_f32_e32 v64, v49, v22
	v_fmac_f32_e32 v65, v51, v16
	;; [unrolled: 1-line block ×3, first 2 shown]
	v_fma_f32 v28, v28, v26, -v62
	v_add_f32_e32 v51, v38, v48
	v_sub_f32_e32 v52, v39, v38
	v_sub_f32_e32 v53, v46, v48
	v_add_f32_e32 v54, v37, v47
	v_fma_f32 v62, -0.5, v31, v36
	v_add_f32_e32 v29, v29, v46
	v_mul_f32_e32 v59, v43, v33
	v_mul_f32_e32 v93, v44, v35
	v_fmac_f32_e32 v67, v43, v32
	v_fma_f32 v43, v44, v34, -v60
	v_sub_f32_e32 v44, v47, v66
	v_sub_f32_e32 v49, v38, v39
	;; [unrolled: 1-line block ×3, first 2 shown]
	v_fma_f32 v60, -0.5, v51, v36
	v_add_f32_e32 v36, v52, v53
	v_add_f32_e32 v39, v54, v64
	v_mov_b32_e32 v54, v62
	v_add_f32_e32 v52, v29, v48
	v_add_f32_e32 v29, v47, v66
	v_fma_f32 v42, v42, v32, -v59
	v_fmac_f32_e32 v93, v45, v34
	v_fma_f32 v30, v30, v24, -v61
	v_sub_f32_e32 v45, v64, v65
	v_sub_f32_e32 v50, v48, v46
	;; [unrolled: 1-line block ×4, first 2 shown]
	v_fmac_f32_e32 v62, 0xbf737871, v44
	v_fmac_f32_e32 v54, 0x3f737871, v44
	v_fma_f32 v61, -0.5, v29, v37
	v_add_f32_e32 v31, v49, v50
	v_add_f32_e32 v49, v58, v59
	v_fmac_f32_e32 v62, 0xbf167918, v45
	v_fmac_f32_e32 v54, 0x3f167918, v45
	v_mov_b32_e32 v59, v61
	v_sub_f32_e32 v38, v38, v48
	v_fmac_f32_e32 v62, 0x3e9e377a, v31
	v_fmac_f32_e32 v54, 0x3e9e377a, v31
	;; [unrolled: 1-line block ×3, first 2 shown]
	v_sub_f32_e32 v29, v64, v47
	v_sub_f32_e32 v31, v65, v66
	v_fmac_f32_e32 v61, 0xbf737871, v68
	v_fmac_f32_e32 v59, 0xbf167918, v38
	v_add_f32_e32 v29, v29, v31
	v_fmac_f32_e32 v61, 0x3f167918, v38
	v_add_f32_e32 v55, v64, v65
	v_fmac_f32_e32 v59, 0x3e9e377a, v29
	v_fmac_f32_e32 v61, 0x3e9e377a, v29
	v_add_f32_e32 v29, v56, v42
	v_fma_f32 v63, -0.5, v55, v37
	v_add_f32_e32 v29, v29, v43
	v_mov_b32_e32 v55, v63
	v_add_f32_e32 v29, v29, v30
	v_mov_b32_e32 v58, v60
	v_fmac_f32_e32 v63, 0x3f737871, v38
	v_fmac_f32_e32 v55, 0xbf737871, v38
	v_add_f32_e32 v64, v29, v28
	v_add_f32_e32 v29, v43, v30
	v_fmac_f32_e32 v60, 0x3f737871, v45
	v_fmac_f32_e32 v58, 0xbf737871, v45
	;; [unrolled: 1-line block ×4, first 2 shown]
	v_fma_f32 v68, -0.5, v29, v56
	v_fmac_f32_e32 v60, 0xbf167918, v44
	v_fmac_f32_e32 v58, 0x3f167918, v44
	v_sub_f32_e32 v29, v67, v110
	v_mov_b32_e32 v70, v68
	v_fmac_f32_e32 v60, 0x3e9e377a, v36
	v_fmac_f32_e32 v58, 0x3e9e377a, v36
	;; [unrolled: 1-line block ×3, first 2 shown]
	v_sub_f32_e32 v31, v93, v94
	v_sub_f32_e32 v36, v42, v43
	;; [unrolled: 1-line block ×3, first 2 shown]
	v_fmac_f32_e32 v68, 0xbf737871, v29
	v_fmac_f32_e32 v70, 0x3f167918, v31
	v_add_f32_e32 v36, v36, v37
	v_fmac_f32_e32 v68, 0xbf167918, v31
	v_fmac_f32_e32 v70, 0x3e9e377a, v36
	;; [unrolled: 1-line block ×3, first 2 shown]
	v_add_f32_e32 v36, v42, v28
	v_fmac_f32_e32 v56, -0.5, v36
	v_mov_b32_e32 v72, v56
	v_fmac_f32_e32 v72, 0xbf737871, v31
	v_fmac_f32_e32 v56, 0x3f737871, v31
	;; [unrolled: 1-line block ×4, first 2 shown]
	v_add_f32_e32 v29, v57, v67
	v_add_f32_e32 v29, v29, v93
	v_add_f32_e32 v29, v29, v94
	v_add_f32_e32 v39, v39, v65
	v_add_f32_e32 v65, v29, v110
	v_add_f32_e32 v29, v93, v94
	v_fma_f32 v69, -0.5, v29, v57
	v_sub_f32_e32 v37, v30, v28
	v_sub_f32_e32 v28, v42, v28
	v_mov_b32_e32 v71, v69
	v_fmac_f32_e32 v71, 0xbf737871, v28
	v_sub_f32_e32 v29, v43, v30
	v_sub_f32_e32 v30, v67, v93
	;; [unrolled: 1-line block ×3, first 2 shown]
	v_fmac_f32_e32 v69, 0x3f737871, v28
	v_fmac_f32_e32 v71, 0xbf167918, v29
	v_add_f32_e32 v30, v30, v31
	v_fmac_f32_e32 v69, 0x3f167918, v29
	v_fmac_f32_e32 v71, 0x3e9e377a, v30
	v_fmac_f32_e32 v69, 0x3e9e377a, v30
	v_add_f32_e32 v30, v67, v110
	v_fmac_f32_e32 v57, -0.5, v30
	v_mov_b32_e32 v73, v57
	v_sub_f32_e32 v36, v43, v42
	v_fmac_f32_e32 v73, 0x3f737871, v29
	v_sub_f32_e32 v30, v93, v67
	v_sub_f32_e32 v31, v94, v110
	v_fmac_f32_e32 v57, 0xbf737871, v29
	v_add_f32_e32 v36, v36, v37
	v_fmac_f32_e32 v73, 0xbf167918, v28
	v_add_f32_e32 v30, v30, v31
	v_fmac_f32_e32 v57, 0x3f167918, v28
	v_mul_u32_u24_e32 v28, 0x5a, v40
	v_add_f32_e32 v53, v39, v66
	v_fmac_f32_e32 v55, 0x3e9e377a, v49
	v_fmac_f32_e32 v63, 0x3e9e377a, v49
	;; [unrolled: 1-line block ×6, first 2 shown]
	v_add_lshl_u32 v110, v28, v41, 3
	ds_write2_b64 v110, v[52:53], v[54:55] offset1:18
	ds_write2_b64 v110, v[58:59], v[60:61] offset0:36 offset1:54
	ds_write_b64 v110, v[62:63] offset:576
	s_and_saveexec_b64 s[6:7], s[4:5]
	s_cbranch_execz .LBB0_11
; %bb.10:
	v_mul_u32_u24_e32 v28, 0x5a, v102
	v_add_lshl_u32 v28, v28, v103, 3
	ds_write2_b64 v28, v[64:65], v[70:71] offset1:18
	ds_write2_b64 v28, v[72:73], v[56:57] offset0:36 offset1:54
	ds_write_b64 v28, v[68:69] offset:576
.LBB0_11:
	s_or_b64 exec, exec, s[6:7]
	v_cmp_gt_u16_e64 s[6:7], s16, v96
	s_waitcnt lgkmcnt(0)
	s_barrier
	s_waitcnt lgkmcnt(0)
                                        ; implicit-def: $vgpr93
	s_and_saveexec_b64 s[18:19], s[6:7]
	s_cbranch_execz .LBB0_13
; %bb.12:
	v_add_u32_e32 v28, 0x400, v95
	ds_read2_b64 v[58:61], v28 offset0:52 offset1:142
	v_add_u32_e32 v28, 0x800, v95
	ds_read2_b64 v[52:55], v95 offset1:90
	ds_read2_b64 v[62:65], v28 offset0:104 offset1:194
	v_add_u32_e32 v29, 0x1400, v95
	v_add_u32_e32 v28, 0x1000, v95
	ds_read2_b64 v[66:69], v29 offset0:80 offset1:170
	ds_read2_b64 v[70:73], v28 offset0:28 offset1:118
	ds_read_b64 v[93:94], v95 offset:7200
	s_waitcnt lgkmcnt(2)
	v_mov_b32_e32 v56, v66
	v_mov_b32_e32 v57, v67
.LBB0_13:
	s_or_b64 exec, exec, s[18:19]
	v_add_u32_e32 v28, 0xffffffa6, v96
	v_cndmask_b32_e64 v28, v28, v96, s[6:7]
	v_mul_hi_i32_i24_e32 v29, 0x50, v28
	v_mul_i32_i24_e32 v28, 0x50, v28
	v_mov_b32_e32 v30, s15
	v_add_co_u32_e32 v66, vcc, s14, v28
	v_addc_co_u32_e32 v67, vcc, v30, v29, vcc
	global_load_dwordx4 v[44:47], v[66:67], off offset:704
	global_load_dwordx4 v[36:39], v[66:67], off offset:720
	;; [unrolled: 1-line block ×5, first 2 shown]
	s_mov_b32 s18, 0x3ed4b147
	s_mov_b32 s20, 0xbf27a4f4
	;; [unrolled: 1-line block ×5, first 2 shown]
	s_waitcnt vmcnt(4)
	v_mul_f32_e32 v66, v54, v45
	v_mul_f32_e32 v67, v58, v47
	v_fmac_f32_e32 v66, v55, v44
	v_mul_f32_e32 v118, v55, v45
	s_waitcnt vmcnt(0) lgkmcnt(0)
	v_mul_f32_e32 v119, v93, v51
	v_mul_f32_e32 v117, v68, v49
	v_fmac_f32_e32 v119, v94, v50
	v_mul_f32_e32 v120, v59, v47
	v_mul_f32_e32 v121, v61, v37
	;; [unrolled: 1-line block ×4, first 2 shown]
	v_fmac_f32_e32 v67, v59, v46
	v_fmac_f32_e32 v117, v69, v48
	v_sub_f32_e32 v133, v66, v119
	v_mul_f32_e32 v111, v60, v37
	v_mul_f32_e32 v112, v62, v39
	;; [unrolled: 1-line block ×4, first 2 shown]
	v_fma_f32 v118, v54, v44, -v118
	v_fma_f32 v55, v58, v46, -v120
	;; [unrolled: 1-line block ×5, first 2 shown]
	v_sub_f32_e32 v137, v67, v117
	v_mul_f32_e32 v94, 0xbf0a6770, v133
	v_mul_f32_e32 v122, v63, v39
	;; [unrolled: 1-line block ×4, first 2 shown]
	v_fmac_f32_e32 v112, v63, v38
	v_fma_f32 v63, v68, v48, -v127
	v_add_f32_e32 v54, v118, v64
	v_mul_f32_e32 v121, 0xbf68dda4, v137
	v_mov_b32_e32 v68, v94
	v_mul_f32_e32 v124, v71, v31
	v_mul_f32_e32 v126, v57, v43
	v_fma_f32 v59, v62, v38, -v122
	v_fma_f32 v62, v72, v40, -v125
	v_fmac_f32_e32 v116, v57, v42
	v_add_f32_e32 v57, v55, v63
	v_mul_f32_e32 v125, 0xbf68dda4, v133
	v_mov_b32_e32 v120, v121
	v_fmac_f32_e32 v68, 0x3f575c64, v54
	v_mul_f32_e32 v114, v70, v31
	v_fmac_f32_e32 v111, v61, v36
	v_fma_f32 v61, v70, v30, -v124
	v_sub_f32_e32 v140, v118, v64
	v_mov_b32_e32 v70, v125
	v_fmac_f32_e32 v120, 0x3ed4b147, v57
	v_add_f32_e32 v68, v52, v68
	v_mul_f32_e32 v132, 0xbf4178ce, v137
	v_fmac_f32_e32 v113, v65, v28
	v_add_f32_e32 v65, v66, v119
	v_sub_f32_e32 v143, v55, v63
	v_mul_f32_e32 v127, 0xbf68dda4, v140
	v_fmac_f32_e32 v70, 0x3ed4b147, v54
	v_add_f32_e32 v68, v120, v68
	v_mov_b32_e32 v120, v132
	v_fmac_f32_e32 v114, v71, v30
	v_add_f32_e32 v93, v67, v117
	v_mul_f32_e32 v129, 0xbf7d64f0, v133
	v_fma_f32 v71, v65, s18, -v127
	v_add_f32_e32 v70, v52, v70
	v_mul_f32_e32 v138, 0xbf4178ce, v143
	v_fmac_f32_e32 v120, 0xbf27a4f4, v57
	v_mul_f32_e32 v115, v72, v41
	v_mov_b32_e32 v72, v129
	v_add_f32_e32 v71, v53, v71
	v_add_f32_e32 v70, v120, v70
	v_fma_f32 v120, v93, s20, -v138
	v_mul_f32_e32 v142, 0x3e903f40, v137
	v_mul_f32_e32 v134, 0xbf7d64f0, v140
	v_fmac_f32_e32 v72, 0xbe11bafb, v54
	v_add_f32_e32 v71, v120, v71
	v_mov_b32_e32 v120, v142
	v_fmac_f32_e32 v115, v73, v40
	v_mul_f32_e32 v122, 0xbf0a6770, v140
	v_fma_f32 v73, v65, s19, -v134
	v_add_f32_e32 v72, v52, v72
	v_mul_f32_e32 v146, 0x3e903f40, v143
	v_fmac_f32_e32 v120, 0xbf75a155, v57
	v_sub_f32_e32 v152, v111, v116
	v_fma_f32 v56, v56, v42, -v126
	v_mul_f32_e32 v124, 0xbf68dda4, v143
	v_fma_f32 v69, v65, s16, -v122
	v_add_f32_e32 v73, v53, v73
	v_add_f32_e32 v72, v120, v72
	v_fma_f32 v120, v93, s21, -v146
	v_mul_f32_e32 v131, 0xbf7d64f0, v152
	v_fma_f32 v123, v93, s18, -v124
	v_add_f32_e32 v69, v53, v69
	v_add_f32_e32 v73, v120, v73
	;; [unrolled: 1-line block ×3, first 2 shown]
	v_sub_f32_e32 v156, v58, v56
	v_mov_b32_e32 v126, v131
	v_add_f32_e32 v69, v123, v69
	v_add_f32_e32 v123, v111, v116
	v_mul_f32_e32 v135, 0xbf7d64f0, v156
	v_fmac_f32_e32 v126, 0xbe11bafb, v120
	v_add_f32_e32 v68, v126, v68
	v_fma_f32 v126, v123, s19, -v135
	v_mul_f32_e32 v141, 0x3e903f40, v152
	v_add_f32_e32 v69, v126, v69
	v_mov_b32_e32 v126, v141
	v_mul_f32_e32 v145, 0x3e903f40, v156
	v_fmac_f32_e32 v126, 0xbf75a155, v120
	v_add_f32_e32 v70, v126, v70
	v_fma_f32 v126, v123, s21, -v145
	v_mul_f32_e32 v149, 0x3f68dda4, v152
	v_add_f32_e32 v71, v126, v71
	v_mov_b32_e32 v126, v149
	v_mul_f32_e32 v153, 0x3f68dda4, v156
	v_fmac_f32_e32 v126, 0x3ed4b147, v120
	v_sub_f32_e32 v157, v112, v115
	v_add_f32_e32 v72, v126, v72
	v_fma_f32 v126, v123, s18, -v153
	v_mul_f32_e32 v139, 0xbf4178ce, v157
	v_add_f32_e32 v73, v126, v73
	v_add_f32_e32 v126, v59, v62
	v_sub_f32_e32 v160, v59, v62
	v_mov_b32_e32 v130, v139
	v_add_f32_e32 v128, v112, v115
	v_mul_f32_e32 v144, 0xbf4178ce, v160
	v_fmac_f32_e32 v130, 0xbf27a4f4, v126
	v_add_f32_e32 v68, v130, v68
	v_fma_f32 v130, v128, s20, -v144
	v_mul_f32_e32 v148, 0x3f7d64f0, v157
	v_add_f32_e32 v69, v130, v69
	v_mov_b32_e32 v130, v148
	v_mul_f32_e32 v151, 0x3f7d64f0, v160
	v_fmac_f32_e32 v130, 0xbe11bafb, v126
	v_add_f32_e32 v70, v130, v70
	v_fma_f32 v130, v128, s19, -v151
	v_mul_f32_e32 v155, 0xbf0a6770, v157
	v_add_f32_e32 v71, v130, v71
	v_mov_b32_e32 v130, v155
	v_mul_f32_e32 v159, 0xbf0a6770, v160
	v_fmac_f32_e32 v130, 0x3f575c64, v126
	v_sub_f32_e32 v162, v113, v114
	v_add_f32_e32 v165, v130, v72
	v_fma_f32 v72, v128, s16, -v159
	v_mul_f32_e32 v147, 0xbe903f40, v162
	v_add_f32_e32 v166, v72, v73
	v_add_f32_e32 v130, v60, v61
	v_sub_f32_e32 v164, v60, v61
	v_mov_b32_e32 v72, v147
	v_add_f32_e32 v136, v113, v114
	v_mul_f32_e32 v150, 0xbe903f40, v164
	v_fmac_f32_e32 v72, 0xbf75a155, v130
	v_add_f32_e32 v68, v72, v68
	v_fma_f32 v72, v136, s21, -v150
	v_mul_f32_e32 v154, 0x3f0a6770, v162
	v_add_f32_e32 v69, v72, v69
	v_mov_b32_e32 v72, v154
	v_mul_f32_e32 v158, 0x3f0a6770, v164
	v_fmac_f32_e32 v72, 0x3f575c64, v130
	v_add_f32_e32 v72, v72, v70
	v_fma_f32 v70, v136, s16, -v158
	v_mul_f32_e32 v161, 0xbf4178ce, v162
	v_add_f32_e32 v73, v70, v71
	v_mul_f32_e32 v163, 0xbf4178ce, v164
	v_mov_b32_e32 v70, v161
	v_fmac_f32_e32 v70, 0xbf27a4f4, v130
	v_fma_f32 v71, v136, s20, -v163
	v_add_f32_e32 v70, v70, v165
	v_add_f32_e32 v71, v71, v166
	s_and_saveexec_b64 s[14:15], s[6:7]
	s_cbranch_execz .LBB0_15
; %bb.14:
	v_mul_f32_e32 v167, 0xbf75a155, v65
	v_mov_b32_e32 v165, v167
	v_mul_f32_e32 v168, 0x3f575c64, v93
	v_fmac_f32_e32 v165, 0x3e903f40, v140
	v_mov_b32_e32 v166, v168
	v_add_f32_e32 v165, v53, v165
	v_fmac_f32_e32 v166, 0xbf0a6770, v143
	v_mul_f32_e32 v169, 0xbf27a4f4, v123
	v_add_f32_e32 v165, v166, v165
	v_mov_b32_e32 v166, v169
	v_fmac_f32_e32 v166, 0x3f4178ce, v156
	v_mul_f32_e32 v170, 0x3ed4b147, v128
	v_add_f32_e32 v165, v166, v165
	v_mov_b32_e32 v166, v170
	;; [unrolled: 4-line block ×4, first 2 shown]
	v_mul_f32_e32 v203, 0x3f0a6770, v137
	v_fmac_f32_e32 v165, 0xbf75a155, v54
	v_mov_b32_e32 v204, v203
	v_fmac_f32_e32 v167, 0xbe903f40, v140
	v_add_f32_e32 v165, v52, v165
	v_fmac_f32_e32 v204, 0x3f575c64, v57
	v_add_f32_e32 v167, v53, v167
	;; [unrolled: 2-line block ×3, first 2 shown]
	v_mul_f32_e32 v204, 0xbf4178ce, v152
	v_add_f32_e32 v167, v168, v167
	v_fmac_f32_e32 v169, 0xbf4178ce, v156
	v_mov_b32_e32 v205, v204
	v_add_f32_e32 v167, v169, v167
	v_fmac_f32_e32 v170, 0x3f68dda4, v160
	v_fmac_f32_e32 v205, 0xbf27a4f4, v120
	v_add_f32_e32 v167, v170, v167
	v_fmac_f32_e32 v201, 0xbf7d64f0, v164
	v_add_f32_e32 v165, v205, v165
	v_mul_f32_e32 v205, 0x3f68dda4, v157
	v_add_f32_e32 v168, v201, v167
	v_fma_f32 v167, v54, s21, -v202
	v_mov_b32_e32 v206, v205
	v_add_f32_e32 v167, v52, v167
	v_fma_f32 v169, v57, s16, -v203
	v_fmac_f32_e32 v206, 0x3ed4b147, v126
	v_add_f32_e32 v167, v169, v167
	v_fma_f32 v169, v120, s20, -v204
	v_add_f32_e32 v165, v206, v165
	v_mul_f32_e32 v206, 0xbf7d64f0, v162
	v_add_f32_e32 v167, v169, v167
	v_fma_f32 v169, v126, s18, -v205
	v_add_f32_e32 v167, v169, v167
	v_fma_f32 v169, v130, s19, -v206
	v_mul_f32_e32 v140, 0xbf4178ce, v140
	v_add_f32_e32 v167, v169, v167
	v_mov_b32_e32 v169, v140
	v_mul_f32_e32 v143, 0x3f7d64f0, v143
	v_fmac_f32_e32 v169, 0xbf27a4f4, v65
	v_mov_b32_e32 v170, v143
	v_add_f32_e32 v169, v53, v169
	v_fmac_f32_e32 v170, 0xbe11bafb, v93
	v_mul_f32_e32 v156, 0xbf0a6770, v156
	v_add_f32_e32 v169, v170, v169
	v_mov_b32_e32 v170, v156
	v_mul_f32_e32 v201, 0xbf4178ce, v133
	v_fmac_f32_e32 v170, 0x3f575c64, v123
	v_mul_f32_e32 v160, 0xbe903f40, v160
	v_fma_f32 v133, v54, s20, -v201
	v_mul_f32_e32 v202, 0x3f7d64f0, v137
	v_add_f32_e32 v169, v170, v169
	v_mov_b32_e32 v170, v160
	v_add_f32_e32 v133, v52, v133
	v_fma_f32 v137, v57, s19, -v202
	v_mul_f32_e32 v152, 0xbf0a6770, v152
	v_add_f32_e32 v66, v53, v66
	v_fmac_f32_e32 v170, 0xbf75a155, v128
	v_mul_f32_e32 v164, 0x3f68dda4, v164
	v_add_f32_e32 v133, v137, v133
	v_fma_f32 v137, v120, s16, -v152
	v_mul_f32_e32 v157, 0xbe903f40, v157
	v_add_f32_e32 v66, v66, v67
	v_add_f32_e32 v169, v170, v169
	v_mov_b32_e32 v170, v164
	v_add_f32_e32 v133, v137, v133
	v_fma_f32 v137, v126, s21, -v157
	v_mul_f32_e32 v162, 0x3f68dda4, v162
	v_add_f32_e32 v66, v66, v111
	v_mul_f32_e32 v176, 0xbe11bafb, v65
	v_fmac_f32_e32 v170, 0x3ed4b147, v136
	v_add_f32_e32 v133, v137, v133
	v_fma_f32 v137, v130, s18, -v162
	v_add_f32_e32 v66, v66, v112
	v_mul_f32_e32 v182, 0xbf75a155, v93
	v_add_f32_e32 v170, v170, v169
	v_add_f32_e32 v169, v137, v133
	;; [unrolled: 1-line block ×4, first 2 shown]
	v_mul_f32_e32 v188, 0x3ed4b147, v123
	v_add_f32_e32 v133, v53, v133
	v_add_f32_e32 v134, v146, v182
	;; [unrolled: 1-line block ×3, first 2 shown]
	v_mul_f32_e32 v194, 0x3f575c64, v128
	v_add_f32_e32 v133, v134, v133
	v_add_f32_e32 v134, v153, v188
	;; [unrolled: 1-line block ×3, first 2 shown]
	v_mul_f32_e32 v175, 0xbe11bafb, v54
	v_mul_f32_e32 v200, 0xbf27a4f4, v136
	v_add_f32_e32 v133, v134, v133
	v_add_f32_e32 v134, v159, v194
	;; [unrolled: 1-line block ×3, first 2 shown]
	v_mul_f32_e32 v181, 0xbf75a155, v57
	v_add_f32_e32 v133, v134, v133
	v_add_f32_e32 v134, v163, v200
	v_sub_f32_e32 v129, v175, v129
	v_add_f32_e32 v66, v66, v117
	v_mul_f32_e32 v187, 0x3ed4b147, v120
	v_add_f32_e32 v134, v134, v133
	v_add_f32_e32 v129, v52, v129
	v_sub_f32_e32 v133, v181, v142
	v_add_f32_e32 v67, v66, v119
	v_add_f32_e32 v66, v52, v118
	v_mul_f32_e32 v193, 0x3f575c64, v126
	v_add_f32_e32 v129, v133, v129
	v_sub_f32_e32 v133, v187, v149
	v_add_f32_e32 v55, v66, v55
	v_mul_f32_e32 v174, 0x3ed4b147, v65
	v_mul_f32_e32 v199, 0xbf27a4f4, v130
	v_add_f32_e32 v129, v133, v129
	v_sub_f32_e32 v133, v193, v155
	v_add_f32_e32 v55, v55, v58
	v_mul_f32_e32 v180, 0xbf27a4f4, v93
	v_add_f32_e32 v129, v133, v129
	v_sub_f32_e32 v133, v199, v161
	v_add_f32_e32 v127, v127, v174
	v_add_f32_e32 v55, v55, v59
	v_mul_f32_e32 v186, 0xbf75a155, v123
	v_add_f32_e32 v133, v133, v129
	v_add_f32_e32 v127, v53, v127
	;; [unrolled: 1-line block ×4, first 2 shown]
	v_mul_f32_e32 v192, 0xbe11bafb, v128
	v_add_f32_e32 v127, v129, v127
	v_add_f32_e32 v129, v145, v186
	;; [unrolled: 1-line block ×3, first 2 shown]
	v_mul_f32_e32 v173, 0x3ed4b147, v54
	v_mul_f32_e32 v198, 0x3f575c64, v136
	v_add_f32_e32 v127, v129, v127
	v_add_f32_e32 v129, v151, v192
	;; [unrolled: 1-line block ×3, first 2 shown]
	v_mul_f32_e32 v179, 0xbf27a4f4, v57
	v_add_f32_e32 v127, v129, v127
	v_add_f32_e32 v129, v158, v198
	v_sub_f32_e32 v125, v173, v125
	v_add_f32_e32 v55, v55, v56
	v_mul_f32_e32 v171, 0x3f575c64, v54
	v_mul_f32_e32 v172, 0x3f575c64, v65
	;; [unrolled: 1-line block ×3, first 2 shown]
	v_add_f32_e32 v138, v129, v127
	v_add_f32_e32 v125, v52, v125
	v_sub_f32_e32 v127, v179, v132
	v_add_f32_e32 v55, v55, v63
	v_mul_f32_e32 v191, 0xbe11bafb, v126
	v_add_f32_e32 v125, v127, v125
	v_sub_f32_e32 v127, v185, v141
	v_add_f32_e32 v122, v122, v172
	v_sub_f32_e32 v94, v171, v94
	v_add_f32_e32 v66, v55, v64
	v_fma_f32 v55, v65, s20, -v140
	v_fmac_f32_e32 v201, 0xbf27a4f4, v54
	v_mul_f32_e32 v177, 0x3ed4b147, v57
	v_mul_f32_e32 v178, 0x3ed4b147, v93
	;; [unrolled: 1-line block ×3, first 2 shown]
	v_add_f32_e32 v125, v127, v125
	v_sub_f32_e32 v127, v191, v148
	v_add_f32_e32 v122, v53, v122
	v_add_f32_e32 v94, v52, v94
	;; [unrolled: 1-line block ×3, first 2 shown]
	v_fma_f32 v55, v93, s19, -v143
	v_add_f32_e32 v52, v52, v201
	v_fmac_f32_e32 v202, 0xbe11bafb, v57
	v_mul_f32_e32 v183, 0xbe11bafb, v120
	v_mul_f32_e32 v184, 0xbe11bafb, v123
	v_add_f32_e32 v125, v127, v125
	v_sub_f32_e32 v127, v197, v154
	v_add_f32_e32 v124, v124, v178
	v_sub_f32_e32 v121, v177, v121
	v_add_f32_e32 v53, v55, v53
	v_fma_f32 v55, v123, s16, -v156
	v_add_f32_e32 v52, v202, v52
	v_fmac_f32_e32 v152, 0x3f575c64, v120
	v_mul_f32_e32 v189, 0xbf27a4f4, v126
	v_mul_f32_e32 v190, 0xbf27a4f4, v128
	v_mov_b32_e32 v207, v206
	v_add_f32_e32 v137, v127, v125
	v_add_f32_e32 v122, v124, v122
	;; [unrolled: 1-line block ×4, first 2 shown]
	v_sub_f32_e32 v121, v183, v131
	v_add_f32_e32 v53, v55, v53
	v_fma_f32 v55, v128, s21, -v160
	v_add_f32_e32 v52, v152, v52
	v_fmac_f32_e32 v157, 0xbf75a155, v126
	v_add_u32_e32 v54, 0x400, v95
	v_mul_f32_e32 v195, 0xbf75a155, v130
	v_mul_f32_e32 v196, 0xbf75a155, v136
	v_fmac_f32_e32 v207, 0xbe11bafb, v130
	v_add_f32_e32 v122, v124, v122
	v_add_f32_e32 v124, v144, v190
	;; [unrolled: 1-line block ×3, first 2 shown]
	v_sub_f32_e32 v121, v189, v139
	v_add_f32_e32 v53, v55, v53
	v_fma_f32 v55, v136, s18, -v164
	v_add_f32_e32 v52, v157, v52
	v_fmac_f32_e32 v162, 0x3ed4b147, v130
	ds_write2_b64 v54, v[137:138], v[133:134] offset0:52 offset1:142
	v_add_u32_e32 v54, 0x800, v95
	v_add_f32_e32 v165, v207, v165
	v_add_f32_e32 v122, v124, v122
	;; [unrolled: 1-line block ×4, first 2 shown]
	v_sub_f32_e32 v121, v195, v147
	v_add_f32_e32 v53, v55, v53
	v_add_f32_e32 v52, v162, v52
	ds_write2_b64 v54, v[169:170], v[167:168] offset0:104 offset1:194
	v_add_u32_e32 v54, 0x1000, v95
	v_add_f32_e32 v122, v124, v122
	v_add_f32_e32 v121, v121, v94
	ds_write2_b64 v54, v[165:166], v[52:53] offset0:28 offset1:118
	v_add_u32_e32 v52, 0x1400, v95
	ds_write2_b64 v95, v[66:67], v[121:122] offset1:90
	ds_write2_b64 v52, v[70:71], v[72:73] offset0:80 offset1:170
	ds_write_b64 v95, v[68:69] offset:7200
.LBB0_15:
	s_or_b64 exec, exec, s[14:15]
	v_mov_b32_e32 v52, s17
	v_addc_co_u32_e64 v55, vcc, 0, v52, s[2:3]
	v_add_co_u32_e32 v52, vcc, 0x1ef0, v74
	s_mov_b64 s[2:3], vcc
	v_add_co_u32_e32 v53, vcc, 0x1000, v74
	v_addc_co_u32_e32 v54, vcc, 0, v55, vcc
	s_waitcnt lgkmcnt(0)
	s_barrier
	global_load_dwordx2 v[61:62], v[53:54], off offset:3824
	v_addc_co_u32_e64 v53, vcc, 0, v55, s[2:3]
	global_load_dwordx2 v[65:66], v[52:53], off offset:880
	global_load_dwordx2 v[93:94], v[52:53], off offset:3960
	s_movk_i32 s2, 0x3000
	v_add_co_u32_e32 v54, vcc, s2, v74
	v_addc_co_u32_e32 v55, vcc, 0, v55, vcc
	global_load_dwordx2 v[115:116], v[54:55], off offset:472
	global_load_dwordx2 v[117:118], v[52:53], off offset:1760
	;; [unrolled: 1-line block ×5, first 2 shown]
	ds_read2_b64 v[56:59], v95 offset1:110
	v_add_u32_e32 v55, 0xc00, v95
	v_add_u32_e32 v54, 0x400, v95
	;; [unrolled: 1-line block ×5, first 2 shown]
	s_waitcnt vmcnt(7) lgkmcnt(0)
	v_mul_f32_e32 v64, v57, v62
	v_mul_f32_e32 v63, v56, v62
	v_fma_f32 v62, v56, v61, -v64
	v_fmac_f32_e32 v63, v57, v61
	ds_write_b64 v95, v[62:63]
	s_waitcnt vmcnt(6)
	v_mul_f32_e32 v111, v59, v66
	v_mul_f32_e32 v67, v58, v66
	ds_read2_b64 v[61:64], v55 offset0:111 offset1:221
	v_fma_f32 v66, v58, v65, -v111
	v_fmac_f32_e32 v67, v59, v65
	ds_read2_b64 v[56:59], v54 offset0:92 offset1:202
	ds_read2_b64 v[111:114], v60 offset0:75 offset1:185
	s_waitcnt vmcnt(5) lgkmcnt(2)
	v_mul_f32_e32 v128, v62, v94
	v_mul_f32_e32 v125, v61, v94
	s_waitcnt vmcnt(4)
	v_mul_f32_e32 v94, v63, v116
	s_waitcnt vmcnt(3) lgkmcnt(1)
	v_mul_f32_e32 v130, v57, v118
	v_mul_f32_e32 v65, v56, v118
	;; [unrolled: 1-line block ×3, first 2 shown]
	s_waitcnt vmcnt(2) lgkmcnt(0)
	v_mul_f32_e32 v131, v112, v120
	v_mul_f32_e32 v116, v111, v120
	s_waitcnt vmcnt(1)
	v_mul_f32_e32 v132, v59, v122
	v_mul_f32_e32 v118, v58, v122
	s_waitcnt vmcnt(0)
	v_mul_f32_e32 v122, v114, v124
	v_mul_f32_e32 v120, v113, v124
	v_fmac_f32_e32 v94, v64, v115
	v_fma_f32 v64, v56, v117, -v130
	v_fmac_f32_e32 v65, v57, v117
	v_fma_f32 v124, v61, v93, -v128
	;; [unrolled: 2-line block ×3, first 2 shown]
	v_fma_f32 v115, v111, v119, -v131
	v_fmac_f32_e32 v116, v112, v119
	v_fma_f32 v117, v58, v121, -v132
	v_fmac_f32_e32 v118, v59, v121
	;; [unrolled: 2-line block ×3, first 2 shown]
	ds_write2_b64 v95, v[66:67], v[64:65] offset0:110 offset1:220
	ds_write2_b64 v126, v[93:94], v[115:116] offset0:93 offset1:203
	;; [unrolled: 1-line block ×3, first 2 shown]
	ds_write_b64 v95, v[119:120] offset:6600
	s_and_saveexec_b64 s[2:3], s[0:1]
	s_cbranch_execz .LBB0_17
; %bb.16:
	global_load_dwordx2 v[56:57], v[52:53], off offset:3520
	v_add_co_u32_e32 v52, vcc, 0x1000, v52
	v_addc_co_u32_e32 v53, vcc, 0, v53, vcc
	global_load_dwordx2 v[52:53], v[52:53], off offset:3384
	ds_read_b64 v[58:59], v95 offset:3520
	ds_read_b64 v[61:62], v95 offset:7480
	s_waitcnt vmcnt(1) lgkmcnt(1)
	v_mul_f32_e32 v63, v59, v57
	v_mul_f32_e32 v64, v58, v57
	v_fma_f32 v63, v58, v56, -v63
	v_fmac_f32_e32 v64, v59, v56
	ds_write_b64 v95, v[63:64] offset:3520
	s_waitcnt vmcnt(0) lgkmcnt(1)
	v_mul_f32_e32 v56, v62, v53
	v_mul_f32_e32 v57, v61, v53
	v_fma_f32 v56, v61, v52, -v56
	v_fmac_f32_e32 v57, v62, v52
	ds_write_b64 v95, v[56:57] offset:7480
.LBB0_17:
	s_or_b64 exec, exec, s[2:3]
	s_waitcnt lgkmcnt(0)
	s_barrier
	ds_read2_b64 v[56:59], v95 offset1:110
	ds_read2_b64 v[64:67], v55 offset0:111 offset1:221
	ds_read2_b64 v[52:55], v54 offset0:92 offset1:202
	;; [unrolled: 1-line block ×3, first 2 shown]
	v_add_u32_e32 v93, 0x14a0, v101
	s_and_saveexec_b64 s[2:3], s[0:1]
	s_cbranch_execz .LBB0_19
; %bb.18:
	ds_read_b64 v[70:71], v95 offset:3520
	ds_read_b64 v[72:73], v95 offset:7480
.LBB0_19:
	s_or_b64 exec, exec, s[2:3]
	s_waitcnt lgkmcnt(2)
	v_sub_f32_e32 v113, v56, v64
	v_sub_f32_e32 v114, v57, v65
	v_fma_f32 v111, v56, 2.0, -v113
	v_fma_f32 v112, v57, 2.0, -v114
	v_sub_f32_e32 v66, v58, v66
	v_sub_f32_e32 v67, v59, v67
	s_waitcnt lgkmcnt(0)
	v_sub_f32_e32 v60, v52, v60
	v_sub_f32_e32 v61, v53, v61
	;; [unrolled: 1-line block ×6, first 2 shown]
	v_fma_f32 v64, v58, 2.0, -v66
	v_fma_f32 v65, v59, 2.0, -v67
	;; [unrolled: 1-line block ×6, first 2 shown]
	s_barrier
	ds_write_b128 v98, v[111:114]
	ds_write_b128 v99, v[64:67]
	;; [unrolled: 1-line block ×4, first 2 shown]
	s_and_saveexec_b64 s[2:3], s[0:1]
	s_cbranch_execz .LBB0_21
; %bb.20:
	v_fma_f32 v55, v71, 2.0, -v57
	v_fma_f32 v54, v70, 2.0, -v56
	ds_write_b128 v97, v[54:57]
.LBB0_21:
	s_or_b64 exec, exec, s[2:3]
	v_add_u32_e32 v93, 0x400, v95
	s_waitcnt lgkmcnt(0)
	s_barrier
	ds_read2_b64 v[58:61], v93 offset0:92 offset1:202
	v_add_u32_e32 v94, 0x1400, v95
	ds_read2_b64 v[62:65], v94 offset0:20 offset1:130
	v_add_u32_e32 v97, 0xc00, v95
	ds_read2_b64 v[52:55], v95 offset1:110
	ds_read2_b64 v[70:73], v97 offset0:56 offset1:166
	ds_read_b64 v[66:67], v95 offset:7040
	s_waitcnt lgkmcnt(4)
	v_mul_f32_e32 v98, v1, v61
	v_fmac_f32_e32 v98, v0, v60
	v_mul_f32_e32 v60, v1, v60
	v_fma_f32 v60, v0, v61, -v60
	s_waitcnt lgkmcnt(3)
	v_mul_f32_e32 v61, v3, v63
	v_fmac_f32_e32 v61, v2, v62
	v_mul_f32_e32 v62, v3, v62
	v_fma_f32 v62, v2, v63, -v62
	s_waitcnt lgkmcnt(1)
	v_mul_f32_e32 v63, v1, v71
	v_fmac_f32_e32 v63, v0, v70
	v_mul_f32_e32 v70, v1, v70
	v_fma_f32 v70, v0, v71, -v70
	v_mul_f32_e32 v71, v3, v65
	v_mul_f32_e32 v99, v1, v73
	;; [unrolled: 1-line block ×3, first 2 shown]
	v_fmac_f32_e32 v71, v2, v64
	v_mul_f32_e32 v64, v3, v64
	v_fmac_f32_e32 v99, v0, v72
	v_fma_f32 v72, v0, v73, -v1
	s_waitcnt lgkmcnt(0)
	v_mul_f32_e32 v73, v3, v67
	v_mul_f32_e32 v0, v3, v66
	v_add_f32_e32 v1, v98, v61
	v_fma_f32 v64, v2, v65, -v64
	v_fmac_f32_e32 v73, v2, v66
	v_fma_f32 v67, v2, v67, -v0
	v_fma_f32 v2, -0.5, v1, v52
	v_add_f32_e32 v3, v60, v62
	v_add_f32_e32 v0, v52, v98
	v_sub_f32_e32 v1, v60, v62
	v_mov_b32_e32 v52, v2
	v_fma_f32 v3, -0.5, v3, v53
	v_add_f32_e32 v0, v0, v61
	v_fmac_f32_e32 v52, 0xbf5db3d7, v1
	v_fmac_f32_e32 v2, 0x3f5db3d7, v1
	v_add_f32_e32 v1, v53, v60
	v_sub_f32_e32 v60, v98, v61
	v_mov_b32_e32 v53, v3
	v_add_f32_e32 v61, v63, v71
	v_fmac_f32_e32 v53, 0x3f5db3d7, v60
	v_fmac_f32_e32 v3, 0xbf5db3d7, v60
	v_add_f32_e32 v60, v54, v63
	v_fma_f32 v54, -0.5, v61, v54
	v_add_f32_e32 v1, v1, v62
	v_sub_f32_e32 v61, v70, v64
	v_mov_b32_e32 v62, v54
	v_fmac_f32_e32 v62, 0xbf5db3d7, v61
	v_fmac_f32_e32 v54, 0x3f5db3d7, v61
	v_add_f32_e32 v61, v55, v70
	v_add_f32_e32 v61, v61, v64
	v_add_f32_e32 v64, v70, v64
	v_fmac_f32_e32 v55, -0.5, v64
	v_sub_f32_e32 v64, v63, v71
	v_mov_b32_e32 v63, v55
	v_add_f32_e32 v65, v99, v73
	v_fmac_f32_e32 v63, 0x3f5db3d7, v64
	v_fmac_f32_e32 v55, 0xbf5db3d7, v64
	v_add_f32_e32 v64, v58, v99
	v_fma_f32 v58, -0.5, v65, v58
	v_sub_f32_e32 v65, v72, v67
	v_mov_b32_e32 v66, v58
	v_fmac_f32_e32 v66, 0xbf5db3d7, v65
	v_fmac_f32_e32 v58, 0x3f5db3d7, v65
	v_add_f32_e32 v65, v59, v72
	v_add_f32_e32 v65, v65, v67
	;; [unrolled: 1-line block ×3, first 2 shown]
	v_fmac_f32_e32 v59, -0.5, v67
	v_sub_f32_e32 v70, v99, v73
	v_mov_b32_e32 v67, v59
	v_add_f32_e32 v60, v60, v71
	v_add_f32_e32 v64, v64, v73
	v_fmac_f32_e32 v67, 0x3f5db3d7, v70
	v_fmac_f32_e32 v59, 0xbf5db3d7, v70
	s_barrier
	ds_write2_b64 v104, v[0:1], v[52:53] offset1:2
	ds_write_b64 v104, v[2:3] offset:32
	ds_write2_b64 v105, v[60:61], v[62:63] offset1:2
	ds_write_b64 v105, v[54:55] offset:32
	ds_write2_b64 v106, v[64:65], v[66:67] offset1:2
	ds_write_b64 v106, v[58:59] offset:32
	s_waitcnt lgkmcnt(0)
	s_barrier
	ds_read2_b64 v[0:3], v93 offset0:92 offset1:202
	ds_read2_b64 v[52:55], v95 offset1:110
	ds_read2_b64 v[58:61], v94 offset0:20 offset1:130
	ds_read2_b64 v[62:65], v97 offset0:56 offset1:166
	ds_read_b64 v[66:67], v95 offset:7040
	s_waitcnt lgkmcnt(4)
	v_mul_f32_e32 v70, v9, v3
	v_fmac_f32_e32 v70, v8, v2
	v_mul_f32_e32 v2, v9, v2
	s_waitcnt lgkmcnt(2)
	v_mul_f32_e32 v9, v11, v59
	v_fma_f32 v8, v8, v3, -v2
	v_fmac_f32_e32 v9, v10, v58
	v_mul_f32_e32 v2, v11, v58
	v_fma_f32 v10, v10, v59, -v2
	s_waitcnt lgkmcnt(1)
	v_mul_f32_e32 v58, v5, v63
	v_mul_f32_e32 v2, v5, v62
	v_add_f32_e32 v3, v70, v9
	v_fmac_f32_e32 v58, v4, v62
	v_fma_f32 v59, v4, v63, -v2
	v_mul_f32_e32 v62, v7, v61
	v_mul_f32_e32 v2, v7, v60
	v_fma_f32 v4, -0.5, v3, v52
	v_add_f32_e32 v5, v8, v10
	v_fmac_f32_e32 v62, v6, v60
	v_fma_f32 v60, v6, v61, -v2
	v_sub_f32_e32 v3, v8, v10
	v_mov_b32_e32 v6, v4
	v_fma_f32 v5, -0.5, v5, v53
	v_fmac_f32_e32 v6, 0xbf5db3d7, v3
	v_fmac_f32_e32 v4, 0x3f5db3d7, v3
	v_add_f32_e32 v3, v53, v8
	v_sub_f32_e32 v8, v70, v9
	v_mov_b32_e32 v7, v5
	v_fmac_f32_e32 v7, 0x3f5db3d7, v8
	v_fmac_f32_e32 v5, 0xbf5db3d7, v8
	v_add_f32_e32 v8, v54, v58
	v_add_f32_e32 v11, v8, v62
	v_add_f32_e32 v8, v58, v62
	v_fma_f32 v54, -0.5, v8, v54
	v_mul_f32_e32 v63, v13, v65
	v_mul_f32_e32 v2, v13, v64
	v_sub_f32_e32 v8, v59, v60
	v_mov_b32_e32 v13, v54
	v_fmac_f32_e32 v13, 0xbf5db3d7, v8
	v_fmac_f32_e32 v54, 0x3f5db3d7, v8
	v_add_f32_e32 v8, v55, v59
	v_fmac_f32_e32 v63, v12, v64
	v_fma_f32 v64, v12, v65, -v2
	v_add_f32_e32 v12, v8, v60
	v_add_f32_e32 v8, v59, v60
	s_waitcnt lgkmcnt(0)
	v_mul_f32_e32 v65, v15, v67
	v_mul_f32_e32 v2, v15, v66
	v_fmac_f32_e32 v55, -0.5, v8
	v_fmac_f32_e32 v65, v14, v66
	v_fma_f32 v15, v14, v67, -v2
	v_sub_f32_e32 v8, v58, v62
	v_mov_b32_e32 v14, v55
	v_fmac_f32_e32 v14, 0x3f5db3d7, v8
	v_fmac_f32_e32 v55, 0xbf5db3d7, v8
	v_add_f32_e32 v8, v0, v63
	v_add_f32_e32 v60, v8, v65
	;; [unrolled: 1-line block ×4, first 2 shown]
	v_fma_f32 v0, -0.5, v8, v0
	v_add_f32_e32 v2, v2, v9
	v_sub_f32_e32 v8, v64, v15
	v_mov_b32_e32 v9, v0
	v_fmac_f32_e32 v9, 0xbf5db3d7, v8
	v_fmac_f32_e32 v0, 0x3f5db3d7, v8
	v_add_f32_e32 v8, v1, v64
	v_add_f32_e32 v61, v8, v15
	;; [unrolled: 1-line block ×3, first 2 shown]
	v_fmac_f32_e32 v1, -0.5, v8
	v_add_f32_e32 v3, v3, v10
	v_sub_f32_e32 v8, v63, v65
	v_mov_b32_e32 v10, v1
	v_fmac_f32_e32 v10, 0x3f5db3d7, v8
	v_fmac_f32_e32 v1, 0xbf5db3d7, v8
	s_barrier
	ds_write2_b64 v107, v[2:3], v[6:7] offset1:6
	ds_write_b64 v107, v[4:5] offset:96
	ds_write2_b64 v108, v[11:12], v[13:14] offset1:6
	ds_write_b64 v108, v[54:55] offset:96
	ds_write2_b64 v109, v[60:61], v[9:10] offset1:6
	ds_write_b64 v109, v[0:1] offset:96
	s_waitcnt lgkmcnt(0)
	s_barrier
	ds_read2_b64 v[5:8], v95 offset1:198
	ds_read2_b64 v[62:65], v97 offset0:12 offset1:210
	ds_read_b64 v[2:3], v95 offset:6336
	s_and_saveexec_b64 s[2:3], s[4:5]
	s_cbranch_execz .LBB0_23
; %bb.22:
	v_add_u32_e32 v0, 0xf00, v95
	ds_read2_b64 v[9:12], v0 offset0:26 offset1:224
	v_add_u32_e32 v0, 0x200, v95
	ds_read2_b64 v[58:61], v0 offset0:46 offset1:244
	ds_read_b64 v[56:57], v95 offset:7216
	s_waitcnt lgkmcnt(2)
	v_mov_b32_e32 v0, v11
	v_mov_b32_e32 v1, v12
	s_waitcnt lgkmcnt(1)
	v_mov_b32_e32 v54, v58
	v_mov_b32_e32 v55, v59
.LBB0_23:
	s_or_b64 exec, exec, s[2:3]
	s_waitcnt lgkmcnt(2)
	v_mul_f32_e32 v11, v21, v8
	v_mul_f32_e32 v4, v21, v7
	v_fmac_f32_e32 v11, v20, v7
	v_fma_f32 v7, v20, v8, -v4
	s_waitcnt lgkmcnt(1)
	v_mul_f32_e32 v4, v23, v62
	v_fma_f32 v13, v22, v63, -v4
	v_mul_f32_e32 v14, v17, v65
	v_mul_f32_e32 v4, v17, v64
	v_fmac_f32_e32 v14, v16, v64
	v_fma_f32 v15, v16, v65, -v4
	s_waitcnt lgkmcnt(0)
	v_mul_f32_e32 v16, v19, v3
	v_fmac_f32_e32 v16, v18, v2
	v_mul_f32_e32 v2, v19, v2
	v_fma_f32 v17, v18, v3, -v2
	v_mul_f32_e32 v20, v33, v61
	v_mul_f32_e32 v2, v33, v60
	;; [unrolled: 1-line block ×3, first 2 shown]
	v_fmac_f32_e32 v20, v32, v60
	v_fma_f32 v21, v32, v61, -v2
	v_mul_f32_e32 v32, v25, v1
	v_fmac_f32_e32 v12, v22, v62
	v_fmac_f32_e32 v32, v24, v0
	v_mul_f32_e32 v0, v25, v0
	v_fma_f32 v24, v24, v1, -v0
	v_add_f32_e32 v1, v12, v14
	v_mul_f32_e32 v2, v35, v9
	v_fma_f32 v4, -0.5, v1, v5
	v_mul_f32_e32 v22, v35, v10
	v_fma_f32 v23, v34, v10, -v2
	v_sub_f32_e32 v1, v7, v17
	v_mov_b32_e32 v2, v4
	v_fmac_f32_e32 v22, v34, v9
	v_fmac_f32_e32 v2, 0xbf737871, v1
	v_sub_f32_e32 v3, v13, v15
	v_sub_f32_e32 v8, v11, v12
	;; [unrolled: 1-line block ×3, first 2 shown]
	v_fmac_f32_e32 v4, 0x3f737871, v1
	v_fmac_f32_e32 v2, 0xbf167918, v3
	v_add_f32_e32 v8, v8, v9
	v_fmac_f32_e32 v4, 0x3f167918, v3
	v_fmac_f32_e32 v2, 0x3e9e377a, v8
	;; [unrolled: 1-line block ×3, first 2 shown]
	v_add_f32_e32 v8, v11, v16
	v_fma_f32 v10, -0.5, v8, v5
	v_mul_f32_e32 v25, v27, v57
	v_mul_f32_e32 v0, v27, v56
	v_mov_b32_e32 v8, v10
	v_fmac_f32_e32 v25, v26, v56
	v_fma_f32 v26, v26, v57, -v0
	v_add_f32_e32 v0, v5, v11
	v_fmac_f32_e32 v8, 0x3f737871, v3
	v_sub_f32_e32 v5, v12, v11
	v_sub_f32_e32 v9, v14, v16
	v_fmac_f32_e32 v10, 0xbf737871, v3
	v_add_f32_e32 v0, v0, v12
	v_fmac_f32_e32 v8, 0xbf167918, v1
	v_add_f32_e32 v5, v5, v9
	;; [unrolled: 2-line block ×3, first 2 shown]
	v_add_f32_e32 v0, v0, v14
	v_fmac_f32_e32 v8, 0x3e9e377a, v5
	v_fmac_f32_e32 v10, 0x3e9e377a, v5
	v_fma_f32 v5, -0.5, v3, v6
	v_add_f32_e32 v0, v0, v16
	v_sub_f32_e32 v16, v11, v16
	v_mov_b32_e32 v3, v5
	v_fmac_f32_e32 v3, 0x3f737871, v16
	v_sub_f32_e32 v12, v12, v14
	v_sub_f32_e32 v9, v7, v13
	v_sub_f32_e32 v11, v17, v15
	v_fmac_f32_e32 v5, 0xbf737871, v16
	v_fmac_f32_e32 v3, 0x3f167918, v12
	v_add_f32_e32 v9, v9, v11
	v_fmac_f32_e32 v5, 0xbf167918, v12
	v_fmac_f32_e32 v3, 0x3e9e377a, v9
	;; [unrolled: 1-line block ×3, first 2 shown]
	v_add_f32_e32 v9, v7, v17
	v_add_f32_e32 v1, v6, v7
	v_fma_f32 v11, -0.5, v9, v6
	v_sub_f32_e32 v6, v13, v7
	v_sub_f32_e32 v7, v15, v17
	v_add_f32_e32 v6, v6, v7
	v_add_f32_e32 v7, v22, v32
	v_mov_b32_e32 v9, v11
	v_fma_f32 v18, -0.5, v7, v54
	v_add_f32_e32 v1, v1, v13
	v_fmac_f32_e32 v9, 0xbf737871, v12
	v_fmac_f32_e32 v11, 0x3f737871, v12
	v_sub_f32_e32 v7, v21, v26
	v_mov_b32_e32 v12, v18
	v_add_f32_e32 v1, v1, v15
	v_fmac_f32_e32 v12, 0xbf737871, v7
	v_sub_f32_e32 v13, v23, v24
	v_sub_f32_e32 v14, v20, v22
	;; [unrolled: 1-line block ×3, first 2 shown]
	v_fmac_f32_e32 v18, 0x3f737871, v7
	v_fmac_f32_e32 v12, 0xbf167918, v13
	v_add_f32_e32 v14, v15, v14
	v_fmac_f32_e32 v18, 0x3f167918, v13
	v_fmac_f32_e32 v9, 0x3f167918, v16
	;; [unrolled: 1-line block ×5, first 2 shown]
	v_add_f32_e32 v14, v25, v20
	v_fmac_f32_e32 v9, 0x3e9e377a, v6
	v_fmac_f32_e32 v11, 0x3e9e377a, v6
	v_add_f32_e32 v6, v54, v20
	v_fmac_f32_e32 v54, -0.5, v14
	v_mov_b32_e32 v14, v54
	v_fmac_f32_e32 v14, 0x3f737871, v13
	v_fmac_f32_e32 v54, 0xbf737871, v13
	v_add_f32_e32 v13, v23, v24
	v_sub_f32_e32 v15, v22, v20
	v_sub_f32_e32 v16, v32, v25
	v_fma_f32 v19, -0.5, v13, v55
	v_fmac_f32_e32 v14, 0xbf167918, v7
	v_add_f32_e32 v15, v16, v15
	v_fmac_f32_e32 v54, 0x3f167918, v7
	v_sub_f32_e32 v16, v20, v25
	v_mov_b32_e32 v13, v19
	v_add_f32_e32 v1, v1, v17
	v_fmac_f32_e32 v14, 0x3e9e377a, v15
	v_fmac_f32_e32 v54, 0x3e9e377a, v15
	;; [unrolled: 1-line block ×3, first 2 shown]
	v_sub_f32_e32 v17, v22, v32
	v_sub_f32_e32 v15, v21, v23
	v_sub_f32_e32 v20, v26, v24
	v_fmac_f32_e32 v19, 0xbf737871, v16
	v_fmac_f32_e32 v13, 0x3f167918, v17
	v_add_f32_e32 v15, v20, v15
	v_fmac_f32_e32 v19, 0xbf167918, v17
	v_fmac_f32_e32 v13, 0x3e9e377a, v15
	;; [unrolled: 1-line block ×3, first 2 shown]
	v_add_f32_e32 v15, v26, v21
	v_add_f32_e32 v7, v21, v55
	v_fmac_f32_e32 v55, -0.5, v15
	v_mov_b32_e32 v15, v55
	v_add_f32_e32 v6, v22, v6
	v_add_f32_e32 v7, v23, v7
	v_fmac_f32_e32 v15, 0xbf737871, v17
	v_sub_f32_e32 v20, v23, v21
	v_sub_f32_e32 v21, v24, v26
	v_fmac_f32_e32 v55, 0x3f737871, v17
	v_add_f32_e32 v6, v32, v6
	v_add_f32_e32 v7, v24, v7
	v_fmac_f32_e32 v15, 0x3f167918, v16
	v_add_f32_e32 v20, v21, v20
	v_fmac_f32_e32 v55, 0xbf167918, v16
	v_add_f32_e32 v6, v25, v6
	v_add_f32_e32 v7, v26, v7
	v_fmac_f32_e32 v15, 0x3e9e377a, v20
	v_fmac_f32_e32 v55, 0x3e9e377a, v20
	s_barrier
	ds_write2_b64 v110, v[0:1], v[2:3] offset1:18
	ds_write2_b64 v110, v[8:9], v[10:11] offset0:36 offset1:54
	ds_write_b64 v110, v[4:5] offset:576
	s_and_saveexec_b64 s[2:3], s[4:5]
	s_cbranch_execz .LBB0_25
; %bb.24:
	v_mul_u32_u24_e32 v16, 0x5a, v102
	v_add_lshl_u32 v16, v16, v103, 3
	ds_write2_b64 v16, v[6:7], v[12:13] offset1:18
	ds_write2_b64 v16, v[14:15], v[54:55] offset0:36 offset1:54
	ds_write_b64 v16, v[18:19] offset:576
.LBB0_25:
	s_or_b64 exec, exec, s[2:3]
	s_waitcnt lgkmcnt(0)
	s_barrier
	s_and_saveexec_b64 s[2:3], s[6:7]
	s_cbranch_execz .LBB0_27
; %bb.26:
	v_add_u32_e32 v4, 0x400, v95
	ds_read2_b64 v[8:11], v4 offset0:52 offset1:142
	v_add_u32_e32 v4, 0x800, v95
	ds_read2_b64 v[0:3], v95 offset1:90
	ds_read2_b64 v[4:7], v4 offset0:104 offset1:194
	v_add_u32_e32 v12, 0x1000, v95
	v_add_u32_e32 v13, 0x1400, v95
	ds_read2_b64 v[16:19], v13 offset0:80 offset1:170
	ds_read2_b64 v[12:15], v12 offset0:28 offset1:118
	ds_read_b64 v[68:69], v95 offset:7200
	s_waitcnt lgkmcnt(2)
	v_mov_b32_e32 v54, v16
	v_mov_b32_e32 v55, v17
.LBB0_27:
	s_or_b64 exec, exec, s[2:3]
	s_and_saveexec_b64 s[2:3], s[6:7]
	s_cbranch_execz .LBB0_29
; %bb.28:
	v_mul_f32_e32 v16, v45, v3
	s_waitcnt lgkmcnt(0)
	v_mul_f32_e32 v20, v51, v69
	v_fmac_f32_e32 v16, v44, v2
	v_fmac_f32_e32 v20, v50, v68
	v_mul_f32_e32 v2, v45, v2
	v_mul_f32_e32 v25, v47, v9
	;; [unrolled: 1-line block ×3, first 2 shown]
	v_sub_f32_e32 v22, v16, v20
	v_mul_f32_e32 v21, v51, v68
	v_fma_f32 v23, v44, v3, -v2
	v_fmac_f32_e32 v25, v46, v8
	v_fmac_f32_e32 v26, v48, v18
	v_mul_f32_e32 v3, v49, v18
	v_mul_f32_e32 v17, 0xbf7d64f0, v22
	v_fma_f32 v21, v50, v69, -v21
	v_sub_f32_e32 v27, v25, v26
	v_fma_f32 v18, v48, v19, -v3
	v_mul_f32_e32 v3, v47, v8
	v_add_f32_e32 v24, v21, v23
	v_mov_b32_e32 v2, v17
	v_mul_f32_e32 v32, 0x3e903f40, v27
	v_fma_f32 v19, v46, v9, -v3
	v_fmac_f32_e32 v2, 0xbe11bafb, v24
	v_add_f32_e32 v33, v18, v19
	v_mov_b32_e32 v3, v32
	v_add_f32_e32 v2, v1, v2
	v_fmac_f32_e32 v3, 0xbf75a155, v33
	v_mul_f32_e32 v34, v37, v11
	v_mul_f32_e32 v35, v43, v55
	v_add_f32_e32 v2, v3, v2
	v_fmac_f32_e32 v34, v36, v10
	v_fmac_f32_e32 v35, v42, v54
	v_mul_f32_e32 v3, v43, v54
	v_sub_f32_e32 v44, v34, v35
	v_fma_f32 v42, v42, v55, -v3
	v_mul_f32_e32 v3, v37, v10
	v_mul_f32_e32 v45, 0x3f68dda4, v44
	v_fma_f32 v36, v36, v11, -v3
	v_add_f32_e32 v37, v42, v36
	v_mov_b32_e32 v3, v45
	v_fmac_f32_e32 v3, 0x3ed4b147, v37
	v_mul_f32_e32 v43, v39, v5
	v_mul_f32_e32 v46, v41, v15
	v_add_f32_e32 v2, v3, v2
	v_fmac_f32_e32 v43, v38, v4
	v_fmac_f32_e32 v46, v40, v14
	v_mul_f32_e32 v3, v41, v14
	v_sub_f32_e32 v47, v43, v46
	v_fma_f32 v40, v40, v15, -v3
	v_mul_f32_e32 v3, v39, v4
	v_mul_f32_e32 v10, 0xbf0a6770, v47
	v_fma_f32 v38, v38, v5, -v3
	v_add_f32_e32 v14, v40, v38
	v_mov_b32_e32 v3, v10
	;; [unrolled: 14-line block ×3, first 2 shown]
	v_sub_f32_e32 v31, v23, v21
	s_mov_b32 s4, 0xbe11bafb
	v_fmac_f32_e32 v3, 0xbf27a4f4, v15
	v_add_f32_e32 v29, v20, v16
	v_mul_f32_e32 v12, 0xbf7d64f0, v31
	v_sub_f32_e32 v50, v19, v18
	s_mov_b32 s5, 0xbf75a155
	v_add_f32_e32 v3, v3, v2
	v_fma_f32 v2, v29, s4, -v12
	v_add_f32_e32 v49, v26, v25
	v_mul_f32_e32 v13, 0x3e903f40, v50
	v_sub_f32_e32 v52, v36, v42
	s_mov_b32 s6, 0x3ed4b147
	v_add_f32_e32 v2, v0, v2
	v_fma_f32 v4, v49, s5, -v13
	;; [unrolled: 6-line block ×4, first 2 shown]
	v_add_f32_e32 v57, v41, v39
	v_mul_f32_e32 v59, 0xbf4178ce, v58
	v_add_f32_e32 v2, v4, v2
	v_fma_f32 v4, v57, s14, -v59
	v_mul_f32_e32 v6, 0xbe903f40, v22
	v_add_f32_e32 v2, v4, v2
	v_mov_b32_e32 v4, v6
	v_mul_f32_e32 v7, 0x3f0a6770, v27
	v_fmac_f32_e32 v4, 0xbf75a155, v24
	v_mov_b32_e32 v5, v7
	v_add_f32_e32 v4, v1, v4
	v_fmac_f32_e32 v5, 0x3f575c64, v33
	v_mul_f32_e32 v8, 0xbf4178ce, v44
	v_add_f32_e32 v4, v5, v4
	v_mov_b32_e32 v5, v8
	v_fmac_f32_e32 v5, 0xbf27a4f4, v37
	v_mul_f32_e32 v9, 0x3f68dda4, v47
	v_add_f32_e32 v4, v5, v4
	v_mov_b32_e32 v5, v9
	v_fma_f32 v6, v24, s5, -v6
	v_fmac_f32_e32 v5, 0x3ed4b147, v14
	v_mul_f32_e32 v60, 0xbf7d64f0, v48
	v_add_f32_e32 v6, v1, v6
	v_fma_f32 v7, v33, s7, -v7
	v_add_f32_e32 v4, v5, v4
	v_mov_b32_e32 v5, v60
	v_add_f32_e32 v6, v7, v6
	v_fma_f32 v7, v37, s14, -v8
	v_fmac_f32_e32 v5, 0xbe11bafb, v15
	v_mul_f32_e32 v61, 0xbe903f40, v31
	v_add_f32_e32 v6, v7, v6
	v_fma_f32 v7, v14, s6, -v9
	v_add_f32_e32 v5, v5, v4
	v_fma_f32 v4, v29, s5, -v61
	;; [unrolled: 2-line block ×3, first 2 shown]
	v_fmac_f32_e32 v61, 0xbf75a155, v29
	v_mul_f32_e32 v60, 0xbf27a4f4, v24
	v_mul_f32_e32 v62, 0x3f0a6770, v50
	v_add_f32_e32 v7, v7, v6
	v_add_f32_e32 v6, v0, v61
	v_mov_b32_e32 v8, v60
	v_mul_f32_e32 v61, 0xbe11bafb, v33
	v_add_f32_e32 v4, v0, v4
	v_fma_f32 v63, v49, s7, -v62
	v_fmac_f32_e32 v62, 0x3f575c64, v49
	v_fmac_f32_e32 v8, 0x3f4178ce, v22
	v_mov_b32_e32 v9, v61
	v_add_f32_e32 v4, v63, v4
	v_mul_f32_e32 v63, 0xbf4178ce, v52
	v_add_f32_e32 v6, v62, v6
	v_add_f32_e32 v8, v1, v8
	v_fmac_f32_e32 v9, 0xbf7d64f0, v27
	v_mul_f32_e32 v62, 0x3f575c64, v37
	v_fma_f32 v64, v51, s14, -v63
	v_fmac_f32_e32 v63, 0xbf27a4f4, v51
	v_add_f32_e32 v8, v9, v8
	v_mov_b32_e32 v9, v62
	v_add_f32_e32 v4, v64, v4
	v_mul_f32_e32 v64, 0x3f68dda4, v55
	v_add_f32_e32 v6, v63, v6
	v_fmac_f32_e32 v9, 0x3f0a6770, v44
	v_mul_f32_e32 v63, 0xbf75a155, v14
	v_fma_f32 v65, v54, s6, -v64
	v_fmac_f32_e32 v64, 0x3ed4b147, v54
	v_add_f32_e32 v8, v9, v8
	v_mov_b32_e32 v9, v63
	v_add_f32_e32 v4, v65, v4
	v_mul_f32_e32 v65, 0xbf7d64f0, v58
	v_add_f32_e32 v6, v64, v6
	v_fmac_f32_e32 v9, 0x3e903f40, v47
	v_mul_f32_e32 v64, 0x3ed4b147, v15
	v_fma_f32 v66, v57, s4, -v65
	v_fmac_f32_e32 v65, 0xbe11bafb, v57
	v_add_f32_e32 v8, v9, v8
	v_mov_b32_e32 v9, v64
	v_add_f32_e32 v6, v65, v6
	v_fmac_f32_e32 v9, 0xbf68dda4, v48
	v_mul_f32_e32 v65, 0xbf4178ce, v31
	v_fma_f32 v17, v24, s4, -v17
	v_add_f32_e32 v4, v66, v4
	v_add_f32_e32 v9, v9, v8
	v_mov_b32_e32 v8, v65
	v_mul_f32_e32 v66, 0x3f7d64f0, v50
	v_add_f32_e32 v17, v1, v17
	v_fma_f32 v32, v33, s5, -v32
	v_fmac_f32_e32 v8, 0xbf27a4f4, v29
	v_mov_b32_e32 v67, v66
	v_add_f32_e32 v17, v32, v17
	v_fma_f32 v32, v37, s6, -v45
	v_add_f32_e32 v8, v0, v8
	v_fmac_f32_e32 v67, 0xbe11bafb, v49
	v_add_f32_e32 v17, v32, v17
	v_fma_f32 v10, v14, s7, -v10
	v_add_f32_e32 v8, v67, v8
	v_mul_f32_e32 v67, 0xbf0a6770, v52
	v_add_f32_e32 v10, v10, v17
	v_fma_f32 v11, v15, s14, -v11
	v_fmac_f32_e32 v12, 0xbe11bafb, v29
	v_mul_f32_e32 v32, 0x3ed4b147, v24
	v_mov_b32_e32 v68, v67
	v_add_f32_e32 v11, v11, v10
	v_add_f32_e32 v10, v0, v12
	v_fmac_f32_e32 v13, 0xbf75a155, v49
	v_mov_b32_e32 v12, v32
	v_mul_f32_e32 v45, 0xbf27a4f4, v33
	v_fmac_f32_e32 v68, 0x3f575c64, v51
	v_add_f32_e32 v10, v13, v10
	v_fmac_f32_e32 v53, 0x3ed4b147, v51
	v_fmac_f32_e32 v12, 0x3f68dda4, v22
	v_mov_b32_e32 v13, v45
	v_add_f32_e32 v8, v68, v8
	v_mul_f32_e32 v68, 0xbe903f40, v55
	v_add_f32_e32 v10, v53, v10
	v_add_f32_e32 v12, v1, v12
	v_fmac_f32_e32 v13, 0x3f4178ce, v27
	v_mul_f32_e32 v53, 0xbf75a155, v37
	v_mov_b32_e32 v69, v68
	v_fmac_f32_e32 v56, 0x3f575c64, v54
	v_add_f32_e32 v12, v13, v12
	v_mov_b32_e32 v13, v53
	v_fmac_f32_e32 v69, 0xbf75a155, v54
	v_add_f32_e32 v10, v56, v10
	v_fmac_f32_e32 v13, 0xbe903f40, v44
	v_mul_f32_e32 v56, 0xbe11bafb, v14
	v_add_f32_e32 v8, v69, v8
	v_mul_f32_e32 v69, 0x3f68dda4, v58
	v_fmac_f32_e32 v59, 0xbf27a4f4, v57
	v_add_f32_e32 v12, v13, v12
	v_mov_b32_e32 v13, v56
	v_mov_b32_e32 v70, v69
	v_add_f32_e32 v10, v59, v10
	v_fmac_f32_e32 v13, 0xbf7d64f0, v47
	v_mul_f32_e32 v59, 0x3f575c64, v15
	v_fmac_f32_e32 v70, 0x3ed4b147, v57
	v_add_f32_e32 v12, v13, v12
	v_mov_b32_e32 v13, v59
	v_add_f32_e32 v8, v70, v8
	v_fmac_f32_e32 v13, 0xbf0a6770, v48
	v_mul_f32_e32 v70, 0xbf68dda4, v31
	v_add_f32_e32 v13, v13, v12
	v_mov_b32_e32 v12, v70
	v_mul_f32_e32 v71, 0xbf4178ce, v50
	v_fmac_f32_e32 v12, 0x3ed4b147, v29
	v_mov_b32_e32 v17, v71
	v_add_f32_e32 v12, v0, v12
	v_fmac_f32_e32 v17, 0xbf27a4f4, v49
	v_mul_f32_e32 v72, 0x3e903f40, v52
	v_add_f32_e32 v12, v17, v12
	v_mov_b32_e32 v17, v72
	v_fmac_f32_e32 v17, 0xbf75a155, v51
	v_mul_f32_e32 v73, 0x3f7d64f0, v55
	v_add_f32_e32 v12, v17, v12
	v_mov_b32_e32 v17, v73
	;; [unrolled: 4-line block ×4, first 2 shown]
	v_mul_f32_e32 v33, 0x3ed4b147, v33
	v_fmac_f32_e32 v17, 0x3f0a6770, v22
	v_mov_b32_e32 v94, v33
	v_add_f32_e32 v17, v1, v17
	v_fmac_f32_e32 v94, 0x3f68dda4, v27
	v_mul_f32_e32 v37, 0xbe11bafb, v37
	v_add_f32_e32 v17, v94, v17
	v_mov_b32_e32 v94, v37
	v_fmac_f32_e32 v94, 0x3f7d64f0, v44
	v_add_f32_e32 v17, v94, v17
	v_mul_f32_e32 v94, 0xbf27a4f4, v14
	v_mov_b32_e32 v14, v94
	v_mul_f32_e32 v97, 0xbf75a155, v15
	v_fmac_f32_e32 v14, 0x3f4178ce, v47
	v_mov_b32_e32 v15, v97
	v_add_f32_e32 v14, v14, v17
	v_fmac_f32_e32 v15, 0x3e903f40, v48
	v_mul_f32_e32 v31, 0xbf0a6770, v31
	v_add_f32_e32 v15, v15, v14
	v_mov_b32_e32 v14, v31
	v_mul_f32_e32 v50, 0xbf68dda4, v50
	v_fmac_f32_e32 v14, 0x3f575c64, v29
	v_mov_b32_e32 v17, v50
	v_add_f32_e32 v14, v0, v14
	v_fmac_f32_e32 v17, 0x3ed4b147, v49
	v_mul_f32_e32 v52, 0xbf7d64f0, v52
	v_add_f32_e32 v14, v17, v14
	v_mov_b32_e32 v17, v52
	v_fmac_f32_e32 v17, 0xbe11bafb, v51
	v_mul_f32_e32 v55, 0xbf4178ce, v55
	v_add_f32_e32 v14, v17, v14
	v_mov_b32_e32 v17, v55
	;; [unrolled: 4-line block ×3, first 2 shown]
	v_fmac_f32_e32 v17, 0xbf75a155, v57
	v_add_f32_e32 v14, v17, v14
	v_add_f32_e32 v17, v23, v1
	;; [unrolled: 1-line block ×13, first 2 shown]
	v_fmac_f32_e32 v60, 0xbf4178ce, v22
	v_add_f32_e32 v17, v18, v17
	v_add_f32_e32 v16, v39, v16
	;; [unrolled: 1-line block ×3, first 2 shown]
	v_fmac_f32_e32 v61, 0x3f7d64f0, v27
	v_add_f32_e32 v16, v41, v16
	v_add_f32_e32 v18, v61, v18
	v_fmac_f32_e32 v62, 0xbf0a6770, v44
	v_add_f32_e32 v16, v46, v16
	v_add_f32_e32 v18, v62, v18
	;; [unrolled: 3-line block ×4, first 2 shown]
	v_fma_f32 v18, v29, s14, -v65
	v_add_f32_e32 v16, v20, v16
	v_add_f32_e32 v18, v0, v18
	v_fma_f32 v20, v49, s4, -v66
	v_add_f32_e32 v18, v20, v18
	v_fma_f32 v20, v51, s7, -v67
	;; [unrolled: 2-line block ×4, first 2 shown]
	v_fmac_f32_e32 v32, 0xbf68dda4, v22
	v_add_f32_e32 v18, v20, v18
	v_add_f32_e32 v20, v1, v32
	v_fmac_f32_e32 v45, 0xbf4178ce, v27
	v_add_f32_e32 v20, v45, v20
	v_fmac_f32_e32 v53, 0x3e903f40, v44
	;; [unrolled: 2-line block ×4, first 2 shown]
	v_add_f32_e32 v17, v21, v17
	v_add_f32_e32 v21, v59, v20
	v_fma_f32 v20, v29, s6, -v70
	v_add_f32_e32 v20, v0, v20
	v_fma_f32 v23, v49, s14, -v71
	v_fmac_f32_e32 v24, 0xbf0a6770, v22
	v_fma_f32 v22, v29, s7, -v31
	v_add_f32_e32 v20, v23, v20
	v_fma_f32 v23, v51, s5, -v72
	v_add_f32_e32 v1, v1, v24
	v_fmac_f32_e32 v33, 0xbf68dda4, v27
	v_add_f32_e32 v0, v0, v22
	v_fma_f32 v22, v49, s6, -v50
	ds_write2_b64 v95, v[16:17], v[14:15] offset1:90
	v_add_u32_e32 v14, 0x400, v95
	v_add_f32_e32 v20, v23, v20
	v_fma_f32 v23, v54, s4, -v73
	v_add_f32_e32 v1, v33, v1
	v_fmac_f32_e32 v37, 0xbf7d64f0, v44
	v_add_f32_e32 v0, v22, v0
	v_fma_f32 v22, v51, s4, -v52
	ds_write2_b64 v14, v[12:13], v[10:11] offset0:52 offset1:142
	v_add_u32_e32 v10, 0x800, v95
	v_add_f32_e32 v20, v23, v20
	v_fma_f32 v23, v57, s7, -v93
	v_add_f32_e32 v1, v37, v1
	v_fmac_f32_e32 v94, 0xbf4178ce, v47
	v_add_f32_e32 v0, v22, v0
	v_fma_f32 v22, v54, s14, -v55
	ds_write2_b64 v10, v[8:9], v[6:7] offset0:104 offset1:194
	v_add_u32_e32 v6, 0x1000, v95
	v_add_f32_e32 v20, v23, v20
	v_add_f32_e32 v1, v94, v1
	v_fmac_f32_e32 v97, 0xbe903f40, v48
	v_add_f32_e32 v0, v22, v0
	v_fma_f32 v22, v57, s5, -v58
	ds_write2_b64 v6, v[4:5], v[18:19] offset0:28 offset1:118
	v_add_u32_e32 v4, 0x1400, v95
	v_add_f32_e32 v1, v97, v1
	v_add_f32_e32 v0, v22, v0
	ds_write2_b64 v4, v[2:3], v[20:21] offset0:80 offset1:170
	ds_write_b64 v95, v[0:1] offset:7200
.LBB0_29:
	s_or_b64 exec, exec, s[2:3]
	s_waitcnt lgkmcnt(0)
	s_barrier
	ds_read2_b64 v[0:3], v95 offset1:110
	v_mad_u64_u32 v[8:9], s[2:3], s10, v82, 0
	s_mov_b32 s2, 0xb37565e2
	s_mov_b32 s3, 0x3f508cab
	s_waitcnt lgkmcnt(0)
	v_mul_f32_e32 v4, v92, v1
	v_fmac_f32_e32 v4, v91, v0
	v_cvt_f64_f32_e32 v[4:5], v4
	v_mul_f32_e32 v0, v92, v0
	v_fma_f32 v0, v91, v1, -v0
	v_cvt_f64_f32_e32 v[0:1], v0
	v_mul_f64 v[4:5], v[4:5], s[2:3]
	v_mad_u64_u32 v[10:11], s[4:5], s8, v96, 0
	v_mov_b32_e32 v6, v9
	v_mad_u64_u32 v[6:7], s[4:5], s11, v82, v[6:7]
	v_mul_f64 v[0:1], v[0:1], s[2:3]
	s_mul_hi_u32 s7, s8, 0xfffffe7f
	v_cvt_f32_f64_e32 v12, v[4:5]
	v_mov_b32_e32 v4, v11
	v_mad_u64_u32 v[14:15], s[4:5], s9, v96, v[4:5]
	v_add_u32_e32 v4, 0xc00, v95
	v_mov_b32_e32 v9, v6
	ds_read2_b64 v[4:7], v4 offset0:111 offset1:221
	v_cvt_f32_f64_e32 v13, v[0:1]
	v_lshlrev_b64 v[0:1], 3, v[8:9]
	v_mov_b32_e32 v11, v14
	v_mov_b32_e32 v14, s13
	s_waitcnt lgkmcnt(0)
	v_mul_f32_e32 v8, v90, v5
	v_fmac_f32_e32 v8, v89, v4
	v_mul_f32_e32 v4, v90, v4
	v_fma_f32 v4, v89, v5, -v4
	v_cvt_f64_f32_e32 v[8:9], v8
	v_cvt_f64_f32_e32 v[4:5], v4
	v_add_co_u32_e32 v15, vcc, s12, v0
	v_addc_co_u32_e32 v14, vcc, v14, v1, vcc
	v_mul_f64 v[0:1], v[8:9], s[2:3]
	v_mul_f64 v[4:5], v[4:5], s[2:3]
	v_lshlrev_b64 v[8:9], 3, v[10:11]
	s_mul_i32 s4, s9, 0x1ef
	s_mul_hi_u32 s5, s8, 0x1ef
	v_add_co_u32_e32 v8, vcc, v15, v8
	s_add_i32 s5, s5, s4
	v_cvt_f32_f64_e32 v0, v[0:1]
	v_cvt_f32_f64_e32 v1, v[4:5]
	v_mul_f32_e32 v4, v88, v3
	v_fmac_f32_e32 v4, v87, v2
	v_mul_f32_e32 v2, v88, v2
	v_fma_f32 v2, v87, v3, -v2
	v_cvt_f64_f32_e32 v[4:5], v4
	v_cvt_f64_f32_e32 v[2:3], v2
	s_mul_i32 s4, s8, 0x1ef
	v_addc_co_u32_e32 v9, vcc, v14, v9, vcc
	v_mul_f64 v[4:5], v[4:5], s[2:3]
	v_mul_f64 v[2:3], v[2:3], s[2:3]
	s_lshl_b64 s[4:5], s[4:5], 3
	global_store_dwordx2 v[8:9], v[12:13], off
	v_mov_b32_e32 v16, s5
	v_add_co_u32_e32 v8, vcc, s4, v8
	v_addc_co_u32_e32 v9, vcc, v9, v16, vcc
	global_store_dwordx2 v[8:9], v[0:1], off
	v_cvt_f32_f64_e32 v4, v[4:5]
	v_cvt_f32_f64_e32 v5, v[2:3]
	v_mul_f32_e32 v0, v86, v7
	v_mul_f32_e32 v2, v86, v6
	v_fmac_f32_e32 v0, v85, v6
	v_fma_f32 v2, v85, v7, -v2
	v_cvt_f64_f32_e32 v[0:1], v0
	v_cvt_f64_f32_e32 v[2:3], v2
	s_mul_i32 s6, s9, 0xfffffe7f
	s_sub_i32 s7, s7, s8
	v_mul_f64 v[6:7], v[0:1], s[2:3]
	v_mul_f64 v[10:11], v[2:3], s[2:3]
	v_add_u32_e32 v0, 0x400, v95
	ds_read2_b64 v[0:3], v0 offset0:92 offset1:202
	s_add_i32 s7, s7, s6
	s_mul_i32 s6, s8, 0xfffffe7f
	s_lshl_b64 s[6:7], s[6:7], 3
	v_mov_b32_e32 v17, s7
	v_add_co_u32_e32 v8, vcc, s6, v8
	v_addc_co_u32_e32 v9, vcc, v9, v17, vcc
	global_store_dwordx2 v[8:9], v[4:5], off
	s_waitcnt lgkmcnt(0)
	v_mul_f32_e32 v4, v84, v1
	v_fmac_f32_e32 v4, v83, v0
	v_cvt_f32_f64_e32 v13, v[10:11]
	v_cvt_f64_f32_e32 v[10:11], v4
	v_add_u32_e32 v4, 0x1400, v95
	v_cvt_f32_f64_e32 v12, v[6:7]
	ds_read2_b64 v[4:7], v4 offset0:75 offset1:185
	v_mul_f32_e32 v0, v84, v0
	v_fma_f32 v0, v83, v1, -v0
	v_cvt_f64_f32_e32 v[0:1], v0
	v_mul_f64 v[10:11], v[10:11], s[2:3]
	s_waitcnt lgkmcnt(0)
	v_mul_f32_e32 v14, v81, v5
	v_fmac_f32_e32 v14, v80, v4
	v_mul_f32_e32 v4, v81, v4
	v_fma_f32 v4, v80, v5, -v4
	v_cvt_f64_f32_e32 v[4:5], v4
	v_mul_f64 v[0:1], v[0:1], s[2:3]
	v_cvt_f64_f32_e32 v[14:15], v14
	v_add_co_u32_e32 v8, vcc, s4, v8
	v_mul_f64 v[4:5], v[4:5], s[2:3]
	v_addc_co_u32_e32 v9, vcc, v9, v16, vcc
	global_store_dwordx2 v[8:9], v[12:13], off
	v_mul_f64 v[12:13], v[14:15], s[2:3]
	v_cvt_f32_f64_e32 v10, v[10:11]
	v_cvt_f32_f64_e32 v11, v[0:1]
	v_add_co_u32_e32 v0, vcc, s6, v8
	v_addc_co_u32_e32 v1, vcc, v9, v17, vcc
	v_cvt_f32_f64_e32 v9, v[4:5]
	v_mul_f32_e32 v4, v79, v3
	v_fmac_f32_e32 v4, v78, v2
	v_mul_f32_e32 v2, v79, v2
	global_store_dwordx2 v[0:1], v[10:11], off
	v_fma_f32 v2, v78, v3, -v2
	v_mul_f32_e32 v10, v77, v7
	v_cvt_f64_f32_e32 v[4:5], v4
	v_cvt_f64_f32_e32 v[2:3], v2
	v_fmac_f32_e32 v10, v76, v6
	v_mul_f32_e32 v6, v77, v6
	v_fma_f32 v6, v76, v7, -v6
	v_cvt_f32_f64_e32 v8, v[12:13]
	v_cvt_f64_f32_e32 v[10:11], v10
	v_cvt_f64_f32_e32 v[6:7], v6
	v_add_co_u32_e32 v0, vcc, s4, v0
	v_mul_f64 v[4:5], v[4:5], s[2:3]
	v_mul_f64 v[2:3], v[2:3], s[2:3]
	v_addc_co_u32_e32 v1, vcc, v1, v16, vcc
	global_store_dwordx2 v[0:1], v[8:9], off
	v_mul_f64 v[8:9], v[10:11], s[2:3]
	v_mul_f64 v[6:7], v[6:7], s[2:3]
	v_add_co_u32_e32 v0, vcc, s6, v0
	v_cvt_f32_f64_e32 v4, v[4:5]
	v_cvt_f32_f64_e32 v5, v[2:3]
	v_addc_co_u32_e32 v1, vcc, v1, v17, vcc
	v_cvt_f32_f64_e32 v2, v[8:9]
	v_cvt_f32_f64_e32 v3, v[6:7]
	global_store_dwordx2 v[0:1], v[4:5], off
	v_add_co_u32_e32 v0, vcc, s4, v0
	v_addc_co_u32_e32 v1, vcc, v1, v16, vcc
	global_store_dwordx2 v[0:1], v[2:3], off
	s_and_b64 exec, exec, s[0:1]
	s_cbranch_execz .LBB0_31
; %bb.30:
	global_load_dwordx2 v[2:3], v[74:75], off offset:3520
	s_movk_i32 s0, 0x1000
	v_add_co_u32_e32 v4, vcc, s0, v74
	v_addc_co_u32_e32 v5, vcc, 0, v75, vcc
	global_load_dwordx2 v[4:5], v[4:5], off offset:3384
	ds_read_b64 v[6:7], v95 offset:3520
	ds_read_b64 v[8:9], v95 offset:7480
	v_add_co_u32_e32 v0, vcc, s6, v0
	v_mov_b32_e32 v11, s5
	s_waitcnt vmcnt(1) lgkmcnt(1)
	v_mul_f32_e32 v10, v7, v3
	v_mul_f32_e32 v3, v6, v3
	v_fmac_f32_e32 v10, v6, v2
	v_fma_f32 v6, v2, v7, -v3
	v_cvt_f64_f32_e32 v[6:7], v6
	v_cvt_f64_f32_e32 v[2:3], v10
	s_waitcnt vmcnt(0) lgkmcnt(0)
	v_mul_f32_e32 v10, v9, v5
	v_mul_f32_e32 v5, v8, v5
	v_fmac_f32_e32 v10, v8, v4
	v_fma_f32 v8, v4, v9, -v5
	v_mul_f64 v[4:5], v[6:7], s[2:3]
	v_cvt_f64_f32_e32 v[6:7], v10
	v_cvt_f64_f32_e32 v[8:9], v8
	v_mul_f64 v[2:3], v[2:3], s[2:3]
	v_mov_b32_e32 v10, s7
	v_mul_f64 v[6:7], v[6:7], s[2:3]
	v_mul_f64 v[8:9], v[8:9], s[2:3]
	v_addc_co_u32_e32 v1, vcc, v1, v10, vcc
	v_cvt_f32_f64_e32 v2, v[2:3]
	v_cvt_f32_f64_e32 v3, v[4:5]
	;; [unrolled: 1-line block ×4, first 2 shown]
	global_store_dwordx2 v[0:1], v[2:3], off
	v_add_co_u32_e32 v0, vcc, s4, v0
	v_addc_co_u32_e32 v1, vcc, v1, v11, vcc
	global_store_dwordx2 v[0:1], v[4:5], off
.LBB0_31:
	s_endpgm
	.section	.rodata,"a",@progbits
	.p2align	6, 0x0
	.amdhsa_kernel bluestein_single_back_len990_dim1_sp_op_CI_CI
		.amdhsa_group_segment_fixed_size 7920
		.amdhsa_private_segment_fixed_size 0
		.amdhsa_kernarg_size 104
		.amdhsa_user_sgpr_count 6
		.amdhsa_user_sgpr_private_segment_buffer 1
		.amdhsa_user_sgpr_dispatch_ptr 0
		.amdhsa_user_sgpr_queue_ptr 0
		.amdhsa_user_sgpr_kernarg_segment_ptr 1
		.amdhsa_user_sgpr_dispatch_id 0
		.amdhsa_user_sgpr_flat_scratch_init 0
		.amdhsa_user_sgpr_private_segment_size 0
		.amdhsa_uses_dynamic_stack 0
		.amdhsa_system_sgpr_private_segment_wavefront_offset 0
		.amdhsa_system_sgpr_workgroup_id_x 1
		.amdhsa_system_sgpr_workgroup_id_y 0
		.amdhsa_system_sgpr_workgroup_id_z 0
		.amdhsa_system_sgpr_workgroup_info 0
		.amdhsa_system_vgpr_workitem_id 0
		.amdhsa_next_free_vgpr 208
		.amdhsa_next_free_sgpr 22
		.amdhsa_reserve_vcc 1
		.amdhsa_reserve_flat_scratch 0
		.amdhsa_float_round_mode_32 0
		.amdhsa_float_round_mode_16_64 0
		.amdhsa_float_denorm_mode_32 3
		.amdhsa_float_denorm_mode_16_64 3
		.amdhsa_dx10_clamp 1
		.amdhsa_ieee_mode 1
		.amdhsa_fp16_overflow 0
		.amdhsa_exception_fp_ieee_invalid_op 0
		.amdhsa_exception_fp_denorm_src 0
		.amdhsa_exception_fp_ieee_div_zero 0
		.amdhsa_exception_fp_ieee_overflow 0
		.amdhsa_exception_fp_ieee_underflow 0
		.amdhsa_exception_fp_ieee_inexact 0
		.amdhsa_exception_int_div_zero 0
	.end_amdhsa_kernel
	.text
.Lfunc_end0:
	.size	bluestein_single_back_len990_dim1_sp_op_CI_CI, .Lfunc_end0-bluestein_single_back_len990_dim1_sp_op_CI_CI
                                        ; -- End function
	.section	.AMDGPU.csdata,"",@progbits
; Kernel info:
; codeLenInByte = 12388
; NumSgprs: 26
; NumVgprs: 208
; ScratchSize: 0
; MemoryBound: 0
; FloatMode: 240
; IeeeMode: 1
; LDSByteSize: 7920 bytes/workgroup (compile time only)
; SGPRBlocks: 3
; VGPRBlocks: 51
; NumSGPRsForWavesPerEU: 26
; NumVGPRsForWavesPerEU: 208
; Occupancy: 1
; WaveLimiterHint : 1
; COMPUTE_PGM_RSRC2:SCRATCH_EN: 0
; COMPUTE_PGM_RSRC2:USER_SGPR: 6
; COMPUTE_PGM_RSRC2:TRAP_HANDLER: 0
; COMPUTE_PGM_RSRC2:TGID_X_EN: 1
; COMPUTE_PGM_RSRC2:TGID_Y_EN: 0
; COMPUTE_PGM_RSRC2:TGID_Z_EN: 0
; COMPUTE_PGM_RSRC2:TIDIG_COMP_CNT: 0
	.type	__hip_cuid_86ae01221ac78734,@object ; @__hip_cuid_86ae01221ac78734
	.section	.bss,"aw",@nobits
	.globl	__hip_cuid_86ae01221ac78734
__hip_cuid_86ae01221ac78734:
	.byte	0                               ; 0x0
	.size	__hip_cuid_86ae01221ac78734, 1

	.ident	"AMD clang version 19.0.0git (https://github.com/RadeonOpenCompute/llvm-project roc-6.4.0 25133 c7fe45cf4b819c5991fe208aaa96edf142730f1d)"
	.section	".note.GNU-stack","",@progbits
	.addrsig
	.addrsig_sym __hip_cuid_86ae01221ac78734
	.amdgpu_metadata
---
amdhsa.kernels:
  - .args:
      - .actual_access:  read_only
        .address_space:  global
        .offset:         0
        .size:           8
        .value_kind:     global_buffer
      - .actual_access:  read_only
        .address_space:  global
        .offset:         8
        .size:           8
        .value_kind:     global_buffer
      - .actual_access:  read_only
        .address_space:  global
        .offset:         16
        .size:           8
        .value_kind:     global_buffer
      - .actual_access:  read_only
        .address_space:  global
        .offset:         24
        .size:           8
        .value_kind:     global_buffer
      - .actual_access:  read_only
        .address_space:  global
        .offset:         32
        .size:           8
        .value_kind:     global_buffer
      - .offset:         40
        .size:           8
        .value_kind:     by_value
      - .address_space:  global
        .offset:         48
        .size:           8
        .value_kind:     global_buffer
      - .address_space:  global
        .offset:         56
        .size:           8
        .value_kind:     global_buffer
      - .address_space:  global
        .offset:         64
        .size:           8
        .value_kind:     global_buffer
      - .address_space:  global
        .offset:         72
        .size:           8
        .value_kind:     global_buffer
      - .offset:         80
        .size:           4
        .value_kind:     by_value
      - .address_space:  global
        .offset:         88
        .size:           8
        .value_kind:     global_buffer
      - .address_space:  global
        .offset:         96
        .size:           8
        .value_kind:     global_buffer
    .group_segment_fixed_size: 7920
    .kernarg_segment_align: 8
    .kernarg_segment_size: 104
    .language:       OpenCL C
    .language_version:
      - 2
      - 0
    .max_flat_workgroup_size: 110
    .name:           bluestein_single_back_len990_dim1_sp_op_CI_CI
    .private_segment_fixed_size: 0
    .sgpr_count:     26
    .sgpr_spill_count: 0
    .symbol:         bluestein_single_back_len990_dim1_sp_op_CI_CI.kd
    .uniform_work_group_size: 1
    .uses_dynamic_stack: false
    .vgpr_count:     208
    .vgpr_spill_count: 0
    .wavefront_size: 64
amdhsa.target:   amdgcn-amd-amdhsa--gfx906
amdhsa.version:
  - 1
  - 2
...

	.end_amdgpu_metadata
